;; amdgpu-corpus repo=ROCm/rocFFT kind=compiled arch=gfx906 opt=O3
	.text
	.amdgcn_target "amdgcn-amd-amdhsa--gfx906"
	.amdhsa_code_object_version 6
	.protected	fft_rtc_back_len2700_factors_3_10_10_3_3_wgs_90_tpt_90_halfLds_sp_ip_CI_sbrr_dirReg ; -- Begin function fft_rtc_back_len2700_factors_3_10_10_3_3_wgs_90_tpt_90_halfLds_sp_ip_CI_sbrr_dirReg
	.globl	fft_rtc_back_len2700_factors_3_10_10_3_3_wgs_90_tpt_90_halfLds_sp_ip_CI_sbrr_dirReg
	.p2align	8
	.type	fft_rtc_back_len2700_factors_3_10_10_3_3_wgs_90_tpt_90_halfLds_sp_ip_CI_sbrr_dirReg,@function
fft_rtc_back_len2700_factors_3_10_10_3_3_wgs_90_tpt_90_halfLds_sp_ip_CI_sbrr_dirReg: ; @fft_rtc_back_len2700_factors_3_10_10_3_3_wgs_90_tpt_90_halfLds_sp_ip_CI_sbrr_dirReg
; %bb.0:
	s_load_dwordx2 s[14:15], s[4:5], 0x18
	s_load_dwordx4 s[8:11], s[4:5], 0x0
	s_load_dwordx2 s[12:13], s[4:5], 0x50
	v_mul_u32_u24_e32 v1, 0x2d9, v0
	v_add_u32_sdwa v5, s6, v1 dst_sel:DWORD dst_unused:UNUSED_PAD src0_sel:DWORD src1_sel:WORD_1
	s_waitcnt lgkmcnt(0)
	s_load_dwordx2 s[2:3], s[14:15], 0x0
	v_cmp_lt_u64_e64 s[0:1], s[10:11], 2
	v_mov_b32_e32 v3, 0
	v_mov_b32_e32 v1, 0
	;; [unrolled: 1-line block ×3, first 2 shown]
	s_and_b64 vcc, exec, s[0:1]
	v_mov_b32_e32 v2, 0
	s_cbranch_vccnz .LBB0_8
; %bb.1:
	s_load_dwordx2 s[0:1], s[4:5], 0x10
	s_add_u32 s6, s14, 8
	s_addc_u32 s7, s15, 0
	v_mov_b32_e32 v1, 0
	v_mov_b32_e32 v2, 0
	s_waitcnt lgkmcnt(0)
	s_add_u32 s16, s0, 8
	s_addc_u32 s17, s1, 0
	s_mov_b64 s[18:19], 1
.LBB0_2:                                ; =>This Inner Loop Header: Depth=1
	s_load_dwordx2 s[20:21], s[16:17], 0x0
                                        ; implicit-def: $vgpr7_vgpr8
	s_waitcnt lgkmcnt(0)
	v_or_b32_e32 v4, s21, v6
	v_cmp_ne_u64_e32 vcc, 0, v[3:4]
	s_and_saveexec_b64 s[0:1], vcc
	s_xor_b64 s[22:23], exec, s[0:1]
	s_cbranch_execz .LBB0_4
; %bb.3:                                ;   in Loop: Header=BB0_2 Depth=1
	v_cvt_f32_u32_e32 v4, s20
	v_cvt_f32_u32_e32 v7, s21
	s_sub_u32 s0, 0, s20
	s_subb_u32 s1, 0, s21
	v_mac_f32_e32 v4, 0x4f800000, v7
	v_rcp_f32_e32 v4, v4
	v_mul_f32_e32 v4, 0x5f7ffffc, v4
	v_mul_f32_e32 v7, 0x2f800000, v4
	v_trunc_f32_e32 v7, v7
	v_mac_f32_e32 v4, 0xcf800000, v7
	v_cvt_u32_f32_e32 v7, v7
	v_cvt_u32_f32_e32 v4, v4
	v_mul_lo_u32 v8, s0, v7
	v_mul_hi_u32 v9, s0, v4
	v_mul_lo_u32 v11, s1, v4
	v_mul_lo_u32 v10, s0, v4
	v_add_u32_e32 v8, v9, v8
	v_add_u32_e32 v8, v8, v11
	v_mul_hi_u32 v9, v4, v10
	v_mul_lo_u32 v11, v4, v8
	v_mul_hi_u32 v13, v4, v8
	v_mul_hi_u32 v12, v7, v10
	v_mul_lo_u32 v10, v7, v10
	v_mul_hi_u32 v14, v7, v8
	v_add_co_u32_e32 v9, vcc, v9, v11
	v_addc_co_u32_e32 v11, vcc, 0, v13, vcc
	v_mul_lo_u32 v8, v7, v8
	v_add_co_u32_e32 v9, vcc, v9, v10
	v_addc_co_u32_e32 v9, vcc, v11, v12, vcc
	v_addc_co_u32_e32 v10, vcc, 0, v14, vcc
	v_add_co_u32_e32 v8, vcc, v9, v8
	v_addc_co_u32_e32 v9, vcc, 0, v10, vcc
	v_add_co_u32_e32 v4, vcc, v4, v8
	v_addc_co_u32_e32 v7, vcc, v7, v9, vcc
	v_mul_lo_u32 v8, s0, v7
	v_mul_hi_u32 v9, s0, v4
	v_mul_lo_u32 v10, s1, v4
	v_mul_lo_u32 v11, s0, v4
	v_add_u32_e32 v8, v9, v8
	v_add_u32_e32 v8, v8, v10
	v_mul_lo_u32 v12, v4, v8
	v_mul_hi_u32 v13, v4, v11
	v_mul_hi_u32 v14, v4, v8
	;; [unrolled: 1-line block ×3, first 2 shown]
	v_mul_lo_u32 v11, v7, v11
	v_mul_hi_u32 v9, v7, v8
	v_add_co_u32_e32 v12, vcc, v13, v12
	v_addc_co_u32_e32 v13, vcc, 0, v14, vcc
	v_mul_lo_u32 v8, v7, v8
	v_add_co_u32_e32 v11, vcc, v12, v11
	v_addc_co_u32_e32 v10, vcc, v13, v10, vcc
	v_addc_co_u32_e32 v9, vcc, 0, v9, vcc
	v_add_co_u32_e32 v8, vcc, v10, v8
	v_addc_co_u32_e32 v9, vcc, 0, v9, vcc
	v_add_co_u32_e32 v4, vcc, v4, v8
	v_addc_co_u32_e32 v9, vcc, v7, v9, vcc
	v_mad_u64_u32 v[7:8], s[0:1], v5, v9, 0
	v_mul_hi_u32 v10, v5, v4
	v_add_co_u32_e32 v11, vcc, v10, v7
	v_addc_co_u32_e32 v12, vcc, 0, v8, vcc
	v_mad_u64_u32 v[7:8], s[0:1], v6, v4, 0
	v_mad_u64_u32 v[9:10], s[0:1], v6, v9, 0
	v_add_co_u32_e32 v4, vcc, v11, v7
	v_addc_co_u32_e32 v4, vcc, v12, v8, vcc
	v_addc_co_u32_e32 v7, vcc, 0, v10, vcc
	v_add_co_u32_e32 v4, vcc, v4, v9
	v_addc_co_u32_e32 v9, vcc, 0, v7, vcc
	v_mul_lo_u32 v10, s21, v4
	v_mul_lo_u32 v11, s20, v9
	v_mad_u64_u32 v[7:8], s[0:1], s20, v4, 0
	v_add3_u32 v8, v8, v11, v10
	v_sub_u32_e32 v10, v6, v8
	v_mov_b32_e32 v11, s21
	v_sub_co_u32_e32 v7, vcc, v5, v7
	v_subb_co_u32_e64 v10, s[0:1], v10, v11, vcc
	v_subrev_co_u32_e64 v11, s[0:1], s20, v7
	v_subbrev_co_u32_e64 v10, s[0:1], 0, v10, s[0:1]
	v_cmp_le_u32_e64 s[0:1], s21, v10
	v_cndmask_b32_e64 v12, 0, -1, s[0:1]
	v_cmp_le_u32_e64 s[0:1], s20, v11
	v_cndmask_b32_e64 v11, 0, -1, s[0:1]
	v_cmp_eq_u32_e64 s[0:1], s21, v10
	v_cndmask_b32_e64 v10, v12, v11, s[0:1]
	v_add_co_u32_e64 v11, s[0:1], 2, v4
	v_addc_co_u32_e64 v12, s[0:1], 0, v9, s[0:1]
	v_add_co_u32_e64 v13, s[0:1], 1, v4
	v_addc_co_u32_e64 v14, s[0:1], 0, v9, s[0:1]
	v_subb_co_u32_e32 v8, vcc, v6, v8, vcc
	v_cmp_ne_u32_e64 s[0:1], 0, v10
	v_cmp_le_u32_e32 vcc, s21, v8
	v_cndmask_b32_e64 v10, v14, v12, s[0:1]
	v_cndmask_b32_e64 v12, 0, -1, vcc
	v_cmp_le_u32_e32 vcc, s20, v7
	v_cndmask_b32_e64 v7, 0, -1, vcc
	v_cmp_eq_u32_e32 vcc, s21, v8
	v_cndmask_b32_e32 v7, v12, v7, vcc
	v_cmp_ne_u32_e32 vcc, 0, v7
	v_cndmask_b32_e64 v7, v13, v11, s[0:1]
	v_cndmask_b32_e32 v8, v9, v10, vcc
	v_cndmask_b32_e32 v7, v4, v7, vcc
.LBB0_4:                                ;   in Loop: Header=BB0_2 Depth=1
	s_andn2_saveexec_b64 s[0:1], s[22:23]
	s_cbranch_execz .LBB0_6
; %bb.5:                                ;   in Loop: Header=BB0_2 Depth=1
	v_cvt_f32_u32_e32 v4, s20
	s_sub_i32 s22, 0, s20
	v_rcp_iflag_f32_e32 v4, v4
	v_mul_f32_e32 v4, 0x4f7ffffe, v4
	v_cvt_u32_f32_e32 v4, v4
	v_mul_lo_u32 v7, s22, v4
	v_mul_hi_u32 v7, v4, v7
	v_add_u32_e32 v4, v4, v7
	v_mul_hi_u32 v4, v5, v4
	v_mul_lo_u32 v7, v4, s20
	v_add_u32_e32 v8, 1, v4
	v_sub_u32_e32 v7, v5, v7
	v_subrev_u32_e32 v9, s20, v7
	v_cmp_le_u32_e32 vcc, s20, v7
	v_cndmask_b32_e32 v7, v7, v9, vcc
	v_cndmask_b32_e32 v4, v4, v8, vcc
	v_add_u32_e32 v8, 1, v4
	v_cmp_le_u32_e32 vcc, s20, v7
	v_cndmask_b32_e32 v7, v4, v8, vcc
	v_mov_b32_e32 v8, v3
.LBB0_6:                                ;   in Loop: Header=BB0_2 Depth=1
	s_or_b64 exec, exec, s[0:1]
	v_mul_lo_u32 v4, v8, s20
	v_mul_lo_u32 v11, v7, s21
	v_mad_u64_u32 v[9:10], s[0:1], v7, s20, 0
	s_load_dwordx2 s[0:1], s[6:7], 0x0
	s_add_u32 s18, s18, 1
	v_add3_u32 v4, v10, v11, v4
	v_sub_co_u32_e32 v5, vcc, v5, v9
	v_subb_co_u32_e32 v4, vcc, v6, v4, vcc
	s_waitcnt lgkmcnt(0)
	v_mul_lo_u32 v4, s0, v4
	v_mul_lo_u32 v6, s1, v5
	v_mad_u64_u32 v[1:2], s[0:1], s0, v5, v[1:2]
	s_addc_u32 s19, s19, 0
	s_add_u32 s6, s6, 8
	v_add3_u32 v2, v6, v2, v4
	v_mov_b32_e32 v4, s10
	v_mov_b32_e32 v5, s11
	s_addc_u32 s7, s7, 0
	v_cmp_ge_u64_e32 vcc, s[18:19], v[4:5]
	s_add_u32 s16, s16, 8
	s_addc_u32 s17, s17, 0
	s_cbranch_vccnz .LBB0_9
; %bb.7:                                ;   in Loop: Header=BB0_2 Depth=1
	v_mov_b32_e32 v5, v7
	v_mov_b32_e32 v6, v8
	s_branch .LBB0_2
.LBB0_8:
	v_mov_b32_e32 v8, v6
	v_mov_b32_e32 v7, v5
.LBB0_9:
	s_lshl_b64 s[0:1], s[10:11], 3
	s_add_u32 s0, s14, s0
	s_addc_u32 s1, s15, s1
	s_load_dwordx2 s[6:7], s[0:1], 0x0
	s_load_dwordx2 s[10:11], s[4:5], 0x20
                                        ; implicit-def: $vgpr71
                                        ; implicit-def: $vgpr72
                                        ; implicit-def: $vgpr64
                                        ; implicit-def: $vgpr65
                                        ; implicit-def: $vgpr66
                                        ; implicit-def: $vgpr67
                                        ; implicit-def: $vgpr68
                                        ; implicit-def: $vgpr69
                                        ; implicit-def: $vgpr70
	s_waitcnt lgkmcnt(0)
	v_mad_u64_u32 v[1:2], s[0:1], s6, v7, v[1:2]
	s_mov_b32 s0, 0x2d82d83
	v_mul_lo_u32 v3, s6, v8
	v_mul_lo_u32 v4, s7, v7
	v_mul_hi_u32 v5, v0, s0
	v_cmp_gt_u64_e32 vcc, s[10:11], v[7:8]
	v_cmp_le_u64_e64 s[0:1], s[10:11], v[7:8]
	v_add3_u32 v2, v4, v2, v3
	v_mul_u32_u24_e32 v3, 0x5a, v5
	v_sub_u32_e32 v63, v0, v3
	s_and_saveexec_b64 s[4:5], s[0:1]
	s_xor_b64 s[0:1], exec, s[4:5]
; %bb.10:
	v_add_u32_e32 v71, 0x5a, v63
	v_add_u32_e32 v72, 0xb4, v63
	v_add_u32_e32 v64, 0x10e, v63
	v_add_u32_e32 v65, 0x168, v63
	v_add_u32_e32 v66, 0x1c2, v63
	v_add_u32_e32 v67, 0x21c, v63
	v_add_u32_e32 v68, 0x276, v63
	v_add_u32_e32 v69, 0x2d0, v63
	v_add_u32_e32 v70, 0x32a, v63
; %bb.11:
	s_or_saveexec_b64 s[4:5], s[0:1]
	v_lshlrev_b64 v[0:1], 3, v[1:2]
                                        ; implicit-def: $vgpr26
                                        ; implicit-def: $vgpr21
                                        ; implicit-def: $vgpr3
                                        ; implicit-def: $vgpr30
                                        ; implicit-def: $vgpr28
                                        ; implicit-def: $vgpr5
                                        ; implicit-def: $vgpr34
                                        ; implicit-def: $vgpr32
                                        ; implicit-def: $vgpr7
                                        ; implicit-def: $vgpr38
                                        ; implicit-def: $vgpr36
                                        ; implicit-def: $vgpr9
                                        ; implicit-def: $vgpr42
                                        ; implicit-def: $vgpr40
                                        ; implicit-def: $vgpr11
                                        ; implicit-def: $vgpr46
                                        ; implicit-def: $vgpr44
                                        ; implicit-def: $vgpr13
                                        ; implicit-def: $vgpr50
                                        ; implicit-def: $vgpr48
                                        ; implicit-def: $vgpr15
                                        ; implicit-def: $vgpr54
                                        ; implicit-def: $vgpr52
                                        ; implicit-def: $vgpr17
                                        ; implicit-def: $vgpr58
                                        ; implicit-def: $vgpr56
                                        ; implicit-def: $vgpr19
                                        ; implicit-def: $vgpr62
                                        ; implicit-def: $vgpr60
                                        ; implicit-def: $vgpr24
	s_xor_b64 exec, exec, s[4:5]
	s_cbranch_execz .LBB0_13
; %bb.12:
	v_mad_u64_u32 v[2:3], s[0:1], s2, v63, 0
	v_add_u32_e32 v8, 0x384, v63
	v_mad_u64_u32 v[6:7], s[0:1], s2, v8, 0
	v_mad_u64_u32 v[3:4], s[0:1], s3, v63, v[3:4]
	v_mov_b32_e32 v5, s13
	v_add_co_u32_e64 v4, s[0:1], s12, v0
	v_addc_co_u32_e64 v5, s[0:1], v5, v1, s[0:1]
	v_mad_u64_u32 v[7:8], s[0:1], s3, v8, v[7:8]
	v_add_u32_e32 v10, 0x708, v63
	v_mad_u64_u32 v[8:9], s[0:1], s2, v10, 0
	v_lshlrev_b64 v[2:3], 3, v[2:3]
	v_add_u32_e32 v71, 0x5a, v63
	v_add_co_u32_e64 v2, s[0:1], v4, v2
	v_addc_co_u32_e64 v3, s[0:1], v5, v3, s[0:1]
	v_mad_u64_u32 v[9:10], s[0:1], s3, v10, v[9:10]
	v_mad_u64_u32 v[10:11], s[0:1], s2, v71, 0
	v_lshlrev_b64 v[6:7], 3, v[6:7]
	v_add_u32_e32 v14, 0x3de, v63
	v_add_co_u32_e64 v6, s[0:1], v4, v6
	v_addc_co_u32_e64 v7, s[0:1], v5, v7, s[0:1]
	v_mad_u64_u32 v[11:12], s[0:1], s3, v71, v[11:12]
	;; [unrolled: 6-line block ×4, first 2 shown]
	v_mad_u64_u32 v[16:17], s[0:1], s2, v72, 0
	v_lshlrev_b64 v[12:13], 3, v[12:13]
	v_add_u32_e32 v64, 0x10e, v63
	v_add_co_u32_e64 v20, s[0:1], v4, v12
	v_addc_co_u32_e64 v21, s[0:1], v5, v13, s[0:1]
	v_lshlrev_b64 v[12:13], 3, v[14:15]
	v_mov_b32_e32 v14, v17
	v_mad_u64_u32 v[14:15], s[0:1], s3, v72, v[14:15]
	v_add_u32_e32 v15, 0x438, v63
	v_mad_u64_u32 v[18:19], s[0:1], s2, v15, 0
	v_add_co_u32_e64 v25, s[0:1], v4, v12
	v_mov_b32_e32 v17, v14
	v_mov_b32_e32 v14, v19
	v_addc_co_u32_e64 v26, s[0:1], v5, v13, s[0:1]
	v_lshlrev_b64 v[12:13], 3, v[16:17]
	v_mad_u64_u32 v[14:15], s[0:1], s3, v15, v[14:15]
	v_add_u32_e32 v17, 0x7bc, v63
	v_mad_u64_u32 v[15:16], s[0:1], s2, v17, 0
	v_add_co_u32_e64 v27, s[0:1], v4, v12
	v_mov_b32_e32 v19, v14
	v_mov_b32_e32 v14, v16
	v_addc_co_u32_e64 v28, s[0:1], v5, v13, s[0:1]
	v_mad_u64_u32 v[16:17], s[0:1], s3, v17, v[14:15]
	v_lshlrev_b64 v[12:13], 3, v[18:19]
	v_mad_u64_u32 v[17:18], s[0:1], s2, v64, 0
	v_add_co_u32_e64 v29, s[0:1], v4, v12
	v_mov_b32_e32 v14, v18
	v_addc_co_u32_e64 v30, s[0:1], v5, v13, s[0:1]
	v_lshlrev_b64 v[12:13], 3, v[15:16]
	v_mad_u64_u32 v[14:15], s[0:1], s3, v64, v[14:15]
	v_add_u32_e32 v19, 0x492, v63
	v_mad_u64_u32 v[15:16], s[0:1], s2, v19, 0
	v_add_co_u32_e64 v31, s[0:1], v4, v12
	v_mov_b32_e32 v18, v14
	v_mov_b32_e32 v14, v16
	v_addc_co_u32_e64 v32, s[0:1], v5, v13, s[0:1]
	v_lshlrev_b64 v[12:13], 3, v[17:18]
	v_mad_u64_u32 v[16:17], s[0:1], s3, v19, v[14:15]
	v_add_u32_e32 v19, 0x816, v63
	v_mad_u64_u32 v[17:18], s[0:1], s2, v19, 0
	v_add_co_u32_e64 v33, s[0:1], v4, v12
	v_mov_b32_e32 v14, v18
	v_addc_co_u32_e64 v34, s[0:1], v5, v13, s[0:1]
	v_lshlrev_b64 v[12:13], 3, v[15:16]
	v_mad_u64_u32 v[14:15], s[0:1], s3, v19, v[14:15]
	v_add_u32_e32 v65, 0x168, v63
	v_mad_u64_u32 v[15:16], s[0:1], s2, v65, 0
	v_add_co_u32_e64 v35, s[0:1], v4, v12
	v_mov_b32_e32 v18, v14
	v_mov_b32_e32 v14, v16
	v_addc_co_u32_e64 v36, s[0:1], v5, v13, s[0:1]
	v_lshlrev_b64 v[12:13], 3, v[17:18]
	v_mad_u64_u32 v[16:17], s[0:1], s3, v65, v[14:15]
	v_add_u32_e32 v19, 0x4ec, v63
	;; [unrolled: 15-line block ×10, first 2 shown]
	v_mad_u64_u32 v[17:18], s[0:1], s2, v19, 0
	v_add_co_u32_e64 v99, s[0:1], v4, v12
	v_mov_b32_e32 v14, v18
	v_addc_co_u32_e64 v100, s[0:1], v5, v13, s[0:1]
	v_lshlrev_b64 v[12:13], 3, v[15:16]
	v_mad_u64_u32 v[14:15], s[0:1], s3, v19, v[14:15]
	v_add_co_u32_e64 v101, s[0:1], v4, v12
	v_mov_b32_e32 v18, v14
	v_addc_co_u32_e64 v102, s[0:1], v5, v13, s[0:1]
	v_lshlrev_b64 v[12:13], 3, v[17:18]
	v_add_co_u32_e64 v103, s[0:1], v4, v12
	v_addc_co_u32_e64 v104, s[0:1], v5, v13, s[0:1]
	global_load_dwordx2 v[23:24], v[2:3], off
	global_load_dwordx2 v[59:60], v[6:7], off
	;; [unrolled: 1-line block ×15, first 2 shown]
                                        ; kill: killed $vgpr39 killed $vgpr40
                                        ; kill: killed $vgpr25 killed $vgpr26
                                        ; kill: killed $vgpr6 killed $vgpr7
                                        ; kill: killed $vgpr73 killed $vgpr74
                                        ; kill: killed $vgpr35 killed $vgpr36
                                        ; kill: killed $vgpr27 killed $vgpr28
                                        ; kill: killed $vgpr31 killed $vgpr32
                                        ; kill: killed $vgpr20 killed $vgpr21
                                        ; kill: killed $vgpr2 killed $vgpr3
                                        ; kill: killed $vgpr41 killed $vgpr42
                                        ; kill: killed $vgpr33 killed $vgpr34
                                        ; kill: killed $vgpr8 killed $vgpr9
                                        ; kill: killed $vgpr37 killed $vgpr38
                                        ; kill: killed $vgpr29 killed $vgpr30
                                        ; kill: killed $vgpr10 killed $vgpr11
	global_load_dwordx2 v[10:11], v[75:76], off
	s_nop 0
	global_load_dwordx2 v[39:40], v[77:78], off
	global_load_dwordx2 v[41:42], v[79:80], off
	;; [unrolled: 1-line block ×14, first 2 shown]
.LBB0_13:
	s_or_b64 exec, exec, s[4:5]
	s_waitcnt vmcnt(27)
	v_add_f32_e32 v73, v61, v59
	v_add_f32_e32 v22, v59, v23
	v_fmac_f32_e32 v23, -0.5, v73
	v_sub_f32_e32 v73, v60, v62
	v_mov_b32_e32 v74, v23
	v_fmac_f32_e32 v74, 0xbf5db3d7, v73
	v_fmac_f32_e32 v23, 0x3f5db3d7, v73
	v_add_f32_e32 v73, v60, v24
	v_add_f32_e32 v60, v62, v60
	v_fmac_f32_e32 v24, -0.5, v60
	v_sub_f32_e32 v59, v59, v61
	v_mov_b32_e32 v92, v24
	s_waitcnt vmcnt(24)
	v_add_f32_e32 v60, v57, v55
	v_fmac_f32_e32 v92, 0x3f5db3d7, v59
	v_fmac_f32_e32 v24, 0xbf5db3d7, v59
	v_add_f32_e32 v59, v55, v18
	v_fmac_f32_e32 v18, -0.5, v60
	v_add_f32_e32 v22, v61, v22
	v_sub_f32_e32 v60, v56, v58
	v_mov_b32_e32 v61, v18
	v_fmac_f32_e32 v61, 0xbf5db3d7, v60
	v_fmac_f32_e32 v18, 0x3f5db3d7, v60
	v_add_f32_e32 v60, v56, v19
	v_add_f32_e32 v56, v58, v56
	v_fmac_f32_e32 v19, -0.5, v56
	v_sub_f32_e32 v55, v55, v57
	v_mov_b32_e32 v98, v19
	s_waitcnt vmcnt(21)
	v_add_f32_e32 v56, v53, v51
	v_fmac_f32_e32 v98, 0x3f5db3d7, v55
	v_fmac_f32_e32 v19, 0xbf5db3d7, v55
	v_add_f32_e32 v55, v51, v16
	v_fmac_f32_e32 v16, -0.5, v56
	v_add_f32_e32 v59, v57, v59
	;; [unrolled: 16-line block ×8, first 2 shown]
	v_sub_f32_e32 v32, v28, v30
	v_mov_b32_e32 v33, v4
	v_fmac_f32_e32 v33, 0xbf5db3d7, v32
	v_fmac_f32_e32 v4, 0x3f5db3d7, v32
	v_add_f32_e32 v32, v28, v5
	v_add_f32_e32 v28, v30, v28
	v_fmac_f32_e32 v5, -0.5, v28
	v_sub_f32_e32 v27, v27, v29
	v_mov_b32_e32 v81, v5
	s_waitcnt vmcnt(0)
	v_add_f32_e32 v28, v25, v20
	v_fmac_f32_e32 v81, 0x3f5db3d7, v27
	v_fmac_f32_e32 v5, 0xbf5db3d7, v27
	v_add_f32_e32 v27, v20, v2
	v_fmac_f32_e32 v2, -0.5, v28
	v_mad_u32_u24 v100, v63, 12, 0
	v_mad_i32_i24 v101, v71, 12, 0
	v_add_f32_e32 v91, v46, v48
	v_add_f32_e32 v31, v29, v31
	v_sub_f32_e32 v28, v21, v26
	v_mov_b32_e32 v29, v2
	ds_write2_b32 v100, v22, v74 offset1:1
	ds_write_b32 v100, v23 offset:8
	ds_write2_b32 v101, v59, v61 offset1:1
	ds_write_b32 v101, v18 offset:8
	v_mad_i32_i24 v18, v72, 12, 0
	v_mad_i32_i24 v48, v64, 12, 0
	;; [unrolled: 1-line block ×4, first 2 shown]
	v_fmac_f32_e32 v29, 0xbf5db3d7, v28
	v_fmac_f32_e32 v2, 0x3f5db3d7, v28
	v_add_f32_e32 v28, v21, v3
	v_add_f32_e32 v21, v26, v21
	ds_write2_b32 v18, v55, v57 offset1:1
	ds_write_b32 v18, v16 offset:8
	ds_write2_b32 v48, v51, v53 offset1:1
	ds_write_b32 v48, v14 offset:8
	;; [unrolled: 2-line block ×4, first 2 shown]
	v_mad_i32_i24 v45, v67, 12, 0
	v_mad_i32_i24 v104, v68, 12, 0
	v_add_f32_e32 v87, v62, v73
	v_add_f32_e32 v96, v58, v60
	;; [unrolled: 1-line block ×3, first 2 shown]
	v_fmac_f32_e32 v3, -0.5, v21
	ds_write2_b32 v45, v39, v41 offset1:1
	ds_write_b32 v45, v8 offset:8
	ds_write2_b32 v104, v35, v37 offset1:1
	ds_write_b32 v104, v6 offset:8
	v_mad_i32_i24 v6, v69, 12, 0
	v_mad_i32_i24 v58, v70, 12, 0
	v_lshl_add_u32 v49, v63, 2, 0
	v_lshlrev_b32_e32 v61, 3, v64
	v_lshlrev_b32_e32 v62, 3, v67
	s_movk_i32 s0, 0xab
	v_add_f32_e32 v94, v54, v56
	v_add_f32_e32 v88, v50, v52
	v_sub_f32_e32 v20, v20, v25
	v_mov_b32_e32 v86, v3
	ds_write2_b32 v6, v31, v33 offset1:1
	ds_write_b32 v6, v4 offset:8
	ds_write2_b32 v58, v27, v29 offset1:1
	ds_write_b32 v58, v2 offset:8
	v_sub_u32_e32 v75, v48, v61
	v_sub_u32_e32 v76, v45, v62
	v_lshlrev_b32_e32 v59, 3, v70
	v_add_u32_e32 v53, 0x1000, v49
	v_add_u32_e32 v46, 0x1200, v49
	;; [unrolled: 1-line block ×12, first 2 shown]
	v_mul_lo_u16_sdwa v2, v63, s0 dst_sel:DWORD dst_unused:UNUSED_PAD src0_sel:BYTE_0 src1_sel:DWORD
	v_add_f32_e32 v90, v42, v44
	v_add_f32_e32 v82, v38, v40
	;; [unrolled: 1-line block ×5, first 2 shown]
	v_fmac_f32_e32 v86, 0x3f5db3d7, v20
	v_fmac_f32_e32 v3, 0xbf5db3d7, v20
	s_waitcnt lgkmcnt(0)
	s_barrier
	v_sub_u32_e32 v74, v58, v59
	ds_read_b32 v14, v76
	ds_read_b32 v99, v74
	ds_read2_b32 v[39:40], v53 offset0:56 offset1:146
	ds_read2_b32 v[35:36], v46 offset0:108 offset1:198
	ds_read2_b32 v[29:30], v60 offset0:84 offset1:174
	ds_read2_b32 v[20:21], v50 offset0:8 offset1:98
	ds_read2_b32 v[27:28], v47 offset0:112 offset1:202
	ds_read2_b32 v[22:23], v56 offset0:36 offset1:126
	v_lshl_add_u32 v52, v71, 2, 0
	ds_read_b32 v12, v49
	ds_read_b32 v10, v52
	ds_read2_b32 v[43:44], v77 offset0:104 offset1:194
	ds_read2_b32 v[41:42], v78 offset0:118 offset1:208
	ds_read2_b32 v[37:38], v51 offset0:132 offset1:222
	ds_read2_b32 v[33:34], v57 offset0:160 offset1:250
	ds_read2_b32 v[31:32], v54 offset0:60 offset1:150
	ds_read2_b32 v[25:26], v73 offset0:88 offset1:178
	v_lshl_add_u32 v55, v72, 2, 0
	ds_read_b32 v16, v75
	ds_read_b32 v8, v55
	s_waitcnt lgkmcnt(0)
	s_barrier
	ds_write2_b32 v100, v87, v92 offset1:1
	ds_write_b32 v100, v24 offset:8
	ds_write2_b32 v101, v96, v98 offset1:1
	ds_write_b32 v101, v19 offset:8
	;; [unrolled: 2-line block ×10, first 2 shown]
	v_lshrrev_b16_e32 v6, 9, v2
	v_mul_lo_u16_e32 v2, 3, v6
	v_sub_u16_e32 v7, v63, v2
	v_mov_b32_e32 v79, 9
	v_mul_u32_u24_sdwa v2, v7, v79 dst_sel:DWORD dst_unused:UNUSED_PAD src0_sel:BYTE_0 src1_sel:DWORD
	v_lshlrev_b32_e32 v9, 3, v2
	v_mul_lo_u16_sdwa v2, v71, s0 dst_sel:DWORD dst_unused:UNUSED_PAD src0_sel:BYTE_0 src1_sel:DWORD
	v_lshrrev_b16_e32 v4, 9, v2
	v_mul_lo_u16_e32 v2, 3, v4
	v_sub_u16_e32 v5, v71, v2
	s_waitcnt lgkmcnt(0)
	s_barrier
	global_load_dwordx4 v[81:84], v9, s[8:9]
	v_mul_u32_u24_sdwa v2, v5, v79 dst_sel:DWORD dst_unused:UNUSED_PAD src0_sel:BYTE_0 src1_sel:DWORD
	v_lshlrev_b32_e32 v11, 3, v2
	global_load_dwordx4 v[88:91], v11, s[8:9]
	s_mov_b32 s0, 0xaaab
	v_mul_u32_u24_sdwa v2, v72, s0 dst_sel:DWORD dst_unused:UNUSED_PAD src0_sel:WORD_0 src1_sel:DWORD
	v_lshrrev_b32_e32 v2, 17, v2
	v_mul_lo_u16_e32 v3, 3, v2
	v_sub_u16_e32 v3, v72, v3
	v_mul_u32_u24_e32 v13, 9, v3
	v_lshlrev_b32_e32 v24, 3, v13
	global_load_dwordx4 v[92:95], v24, s[8:9]
	global_load_dwordx4 v[100:103], v9, s[8:9] offset:16
	global_load_dwordx4 v[104:107], v11, s[8:9] offset:16
	;; [unrolled: 1-line block ×5, first 2 shown]
	global_load_dwordx2 v[96:97], v9, s[8:9] offset:64
	global_load_dwordx4 v[120:123], v11, s[8:9] offset:32
	ds_read_b32 v9, v75
	ds_read_b32 v13, v76
	;; [unrolled: 1-line block ×3, first 2 shown]
	ds_read2_b32 v[18:19], v77 offset0:104 offset1:194
	ds_read2_b32 v[85:86], v78 offset0:118 offset1:208
	ds_read_b32 v87, v55
	global_load_dwordx4 v[124:127], v11, s[8:9] offset:48
	global_load_dwordx4 v[128:131], v24, s[8:9] offset:32
	v_mul_u32_u24_e32 v6, 0x78, v6
	v_mul_u32_u24_e32 v4, 0x78, v4
	;; [unrolled: 1-line block ×3, first 2 shown]
	v_lshlrev_b32_e32 v3, 2, v3
	s_movk_i32 s0, 0x89
	s_movk_i32 s4, 0x1000
	s_waitcnt vmcnt(11) lgkmcnt(5)
	v_mul_f32_e32 v80, v9, v82
	v_mul_f32_e32 v15, v16, v82
	v_fmac_f32_e32 v80, v16, v81
	v_fma_f32 v81, v9, v81, -v15
	v_mul_f32_e32 v9, v14, v84
	s_waitcnt lgkmcnt(4)
	v_fma_f32 v133, v13, v83, -v9
	s_waitcnt vmcnt(10)
	v_mul_f32_e32 v9, v43, v89
	s_waitcnt lgkmcnt(2)
	v_fma_f32 v17, v18, v88, -v9
	v_mul_f32_e32 v9, v41, v91
	v_mul_f32_e32 v132, v13, v84
	;; [unrolled: 1-line block ×3, first 2 shown]
	s_waitcnt lgkmcnt(1)
	v_mul_f32_e32 v18, v85, v91
	v_fma_f32 v16, v85, v90, -v9
	s_waitcnt vmcnt(9)
	v_mul_f32_e32 v9, v44, v93
	v_fmac_f32_e32 v132, v14, v83
	v_fmac_f32_e32 v18, v41, v90
	global_load_dwordx2 v[89:90], v11, s[8:9] offset:64
	v_mul_f32_e32 v11, v19, v93
	v_fma_f32 v13, v19, v92, -v9
	v_mul_f32_e32 v14, v86, v95
	v_mul_f32_e32 v9, v42, v95
	v_fmac_f32_e32 v11, v44, v92
	v_fmac_f32_e32 v14, v42, v94
	v_fma_f32 v9, v86, v94, -v9
	global_load_dwordx4 v[92:95], v24, s[8:9] offset:48
	s_waitcnt vmcnt(10)
	v_mul_f32_e32 v42, v98, v101
	v_mul_f32_e32 v19, v99, v101
	v_fmac_f32_e32 v42, v99, v100
	v_fma_f32 v41, v98, v100, -v19
	global_load_dwordx2 v[98:99], v24, s[8:9] offset:64
	v_fmac_f32_e32 v15, v43, v88
	ds_read2_b32 v[43:44], v53 offset0:56 offset1:146
	ds_read2_b32 v[83:84], v51 offset0:132 offset1:222
	v_mul_f32_e32 v19, v39, v103
	s_waitcnt vmcnt(10)
	v_mul_f32_e32 v24, v37, v105
	ds_read2_b32 v[85:86], v46 offset0:108 offset1:198
	ds_read2_b32 v[100:101], v60 offset0:84 offset1:174
	s_waitcnt lgkmcnt(3)
	v_mul_f32_e32 v134, v43, v103
	v_fmac_f32_e32 v134, v39, v102
	v_fma_f32 v135, v43, v102, -v19
	v_mul_f32_e32 v19, v44, v107
	v_mul_f32_e32 v39, v40, v107
	v_fmac_f32_e32 v19, v40, v106
	s_waitcnt lgkmcnt(2)
	v_mul_f32_e32 v40, v83, v105
	v_fma_f32 v44, v44, v106, -v39
	v_fma_f32 v39, v83, v104, -v24
	s_waitcnt vmcnt(9)
	v_mul_f32_e32 v83, v84, v109
	v_fmac_f32_e32 v40, v37, v104
	v_fmac_f32_e32 v83, v38, v108
	v_mul_f32_e32 v24, v38, v109
	ds_read2_b32 v[37:38], v50 offset0:8 offset1:98
	ds_read2_b32 v[102:103], v47 offset0:112 offset1:202
	s_waitcnt lgkmcnt(3)
	v_mul_f32_e32 v88, v85, v111
	v_fmac_f32_e32 v88, v35, v110
	v_mul_f32_e32 v35, v35, v111
	s_waitcnt vmcnt(7) lgkmcnt(1)
	v_mul_f32_e32 v111, v38, v117
	v_fmac_f32_e32 v111, v21, v116
	v_mul_f32_e32 v21, v21, v117
	v_fma_f32 v85, v85, v110, -v35
	v_mul_f32_e32 v107, v86, v113
	v_mul_f32_e32 v35, v36, v113
	;; [unrolled: 1-line block ×3, first 2 shown]
	v_fma_f32 v38, v38, v116, -v21
	v_mul_f32_e32 v21, v27, v119
	v_fma_f32 v24, v84, v108, -v24
	v_fmac_f32_e32 v107, v36, v112
	v_fma_f32 v108, v86, v112, -v35
	v_fmac_f32_e32 v109, v29, v114
	v_mul_f32_e32 v29, v29, v115
	s_waitcnt lgkmcnt(0)
	v_mul_f32_e32 v112, v102, v119
	v_fma_f32 v113, v102, v118, -v21
	s_waitcnt vmcnt(5)
	v_mul_f32_e32 v115, v101, v123
	v_mul_f32_e32 v21, v30, v123
	v_fma_f32 v110, v100, v114, -v29
	v_fmac_f32_e32 v112, v27, v118
	ds_read2_b32 v[35:36], v57 offset0:160 offset1:250
	ds_read_b32 v114, v49
	ds_read_b32 v27, v52
	v_fmac_f32_e32 v115, v30, v122
	v_fma_f32 v116, v101, v122, -v21
	ds_read2_b32 v[29:30], v54 offset0:60 offset1:150
	ds_read2_b32 v[100:101], v56 offset0:36 offset1:126
	s_waitcnt vmcnt(4)
	v_mul_f32_e32 v117, v103, v127
	v_fmac_f32_e32 v117, v28, v126
	v_mul_f32_e32 v28, v28, v127
	v_fma_f32 v118, v103, v126, -v28
	ds_read2_b32 v[102:103], v73 offset0:88 offset1:178
	v_mul_f32_e32 v28, v31, v125
	s_waitcnt vmcnt(3)
	v_mul_f32_e32 v105, v37, v131
	s_waitcnt lgkmcnt(2)
	v_mul_f32_e32 v82, v29, v125
	v_fma_f32 v28, v29, v124, -v28
	s_waitcnt lgkmcnt(1)
	v_mul_f32_e32 v29, v101, v97
	v_fmac_f32_e32 v105, v20, v130
	v_mul_f32_e32 v20, v20, v131
	v_fmac_f32_e32 v29, v23, v96
	v_mul_f32_e32 v23, v23, v97
	v_fma_f32 v91, v37, v130, -v20
	v_fmac_f32_e32 v82, v31, v124
	v_fma_f32 v31, v101, v96, -v23
	v_mul_f32_e32 v43, v35, v121
	v_mul_f32_e32 v21, v33, v121
	s_waitcnt vmcnt(2) lgkmcnt(0)
	v_mul_f32_e32 v101, v102, v90
	v_mul_f32_e32 v23, v25, v90
	v_fmac_f32_e32 v101, v25, v89
	v_fma_f32 v23, v102, v89, -v23
	v_mul_f32_e32 v86, v36, v129
	v_fmac_f32_e32 v43, v33, v120
	v_fma_f32 v21, v35, v120, -v21
	v_fmac_f32_e32 v86, v34, v128
	s_waitcnt vmcnt(1)
	v_mul_f32_e32 v20, v32, v93
	v_mul_f32_e32 v106, v100, v95
	v_fma_f32 v84, v30, v92, -v20
	v_fmac_f32_e32 v106, v22, v94
	v_mul_f32_e32 v20, v22, v95
	v_add_f32_e32 v22, v134, v109
	v_mul_f32_e32 v89, v30, v93
	v_fma_f32 v22, -0.5, v22, v12
	v_fmac_f32_e32 v89, v32, v92
	v_sub_f32_e32 v30, v133, v113
	v_mov_b32_e32 v32, v22
	v_mul_f32_e32 v25, v34, v129
	v_fmac_f32_e32 v32, 0xbf737871, v30
	v_sub_f32_e32 v33, v135, v110
	v_sub_f32_e32 v34, v132, v134
	;; [unrolled: 1-line block ×3, first 2 shown]
	v_fmac_f32_e32 v22, 0x3f737871, v30
	v_fmac_f32_e32 v32, 0xbf167918, v33
	v_add_f32_e32 v34, v34, v35
	v_fmac_f32_e32 v22, 0x3f167918, v33
	v_fma_f32 v104, v100, v94, -v20
	s_waitcnt vmcnt(0)
	v_mul_f32_e32 v90, v103, v99
	v_mul_f32_e32 v20, v26, v99
	v_fmac_f32_e32 v32, 0x3e9e377a, v34
	v_fmac_f32_e32 v22, 0x3e9e377a, v34
	v_add_f32_e32 v34, v132, v112
	v_fmac_f32_e32 v90, v26, v98
	v_fma_f32 v26, v103, v98, -v20
	v_add_f32_e32 v20, v12, v132
	v_fmac_f32_e32 v12, -0.5, v34
	v_mov_b32_e32 v34, v12
	v_fmac_f32_e32 v34, 0x3f737871, v33
	v_fmac_f32_e32 v12, 0xbf737871, v33
	;; [unrolled: 1-line block ×4, first 2 shown]
	v_add_f32_e32 v30, v114, v133
	v_add_f32_e32 v30, v30, v135
	;; [unrolled: 1-line block ×6, first 2 shown]
	v_fma_f32 v25, v36, v128, -v25
	v_add_f32_e32 v20, v20, v109
	v_sub_f32_e32 v35, v134, v132
	v_sub_f32_e32 v36, v109, v112
	v_fma_f32 v100, -0.5, v30, v114
	v_add_f32_e32 v20, v20, v112
	v_add_f32_e32 v35, v35, v36
	v_sub_f32_e32 v30, v132, v112
	v_mov_b32_e32 v112, v100
	v_fmac_f32_e32 v34, 0x3e9e377a, v35
	v_fmac_f32_e32 v12, 0x3e9e377a, v35
	;; [unrolled: 1-line block ×3, first 2 shown]
	v_sub_f32_e32 v35, v134, v109
	v_sub_f32_e32 v36, v133, v135
	;; [unrolled: 1-line block ×3, first 2 shown]
	v_fmac_f32_e32 v100, 0xbf737871, v30
	v_fmac_f32_e32 v112, 0x3f167918, v35
	v_add_f32_e32 v36, v36, v37
	v_fmac_f32_e32 v100, 0xbf167918, v35
	v_fmac_f32_e32 v112, 0x3e9e377a, v36
	;; [unrolled: 1-line block ×3, first 2 shown]
	v_add_f32_e32 v36, v133, v113
	v_fmac_f32_e32 v114, -0.5, v36
	v_mov_b32_e32 v109, v114
	v_fmac_f32_e32 v109, 0xbf737871, v35
	v_fmac_f32_e32 v114, 0x3f737871, v35
	;; [unrolled: 1-line block ×4, first 2 shown]
	v_add_f32_e32 v30, v80, v42
	v_add_f32_e32 v30, v30, v107
	v_add_f32_e32 v30, v30, v111
	v_sub_f32_e32 v36, v135, v133
	v_sub_f32_e32 v37, v110, v113
	v_add_f32_e32 v93, v30, v29
	v_add_f32_e32 v30, v107, v111
	;; [unrolled: 1-line block ×3, first 2 shown]
	v_fma_f32 v30, -0.5, v30, v80
	v_fmac_f32_e32 v109, 0x3e9e377a, v36
	v_fmac_f32_e32 v114, 0x3e9e377a, v36
	v_sub_f32_e32 v35, v41, v31
	v_mov_b32_e32 v36, v30
	v_fmac_f32_e32 v36, 0xbf737871, v35
	v_sub_f32_e32 v37, v108, v38
	v_sub_f32_e32 v92, v42, v107
	;; [unrolled: 1-line block ×3, first 2 shown]
	v_fmac_f32_e32 v30, 0x3f737871, v35
	v_fmac_f32_e32 v36, 0xbf167918, v37
	v_add_f32_e32 v92, v92, v94
	v_fmac_f32_e32 v30, 0x3f167918, v37
	v_fmac_f32_e32 v36, 0x3e9e377a, v92
	;; [unrolled: 1-line block ×3, first 2 shown]
	v_add_f32_e32 v92, v42, v29
	v_fmac_f32_e32 v80, -0.5, v92
	v_mov_b32_e32 v94, v80
	v_fmac_f32_e32 v94, 0x3f737871, v37
	v_fmac_f32_e32 v80, 0xbf737871, v37
	;; [unrolled: 1-line block ×4, first 2 shown]
	v_add_f32_e32 v35, v81, v41
	v_add_f32_e32 v35, v35, v108
	;; [unrolled: 1-line block ×3, first 2 shown]
	v_sub_f32_e32 v92, v107, v42
	v_sub_f32_e32 v95, v111, v29
	v_add_f32_e32 v110, v35, v31
	v_add_f32_e32 v35, v108, v38
	;; [unrolled: 1-line block ×3, first 2 shown]
	v_fma_f32 v95, -0.5, v35, v81
	v_sub_f32_e32 v29, v42, v29
	v_mov_b32_e32 v35, v95
	v_fmac_f32_e32 v94, 0x3e9e377a, v92
	v_fmac_f32_e32 v80, 0x3e9e377a, v92
	;; [unrolled: 1-line block ×3, first 2 shown]
	v_sub_f32_e32 v37, v107, v111
	v_sub_f32_e32 v42, v41, v108
	;; [unrolled: 1-line block ×3, first 2 shown]
	v_fmac_f32_e32 v95, 0xbf737871, v29
	v_fmac_f32_e32 v35, 0x3f167918, v37
	v_add_f32_e32 v42, v42, v92
	v_fmac_f32_e32 v95, 0xbf167918, v37
	v_fmac_f32_e32 v35, 0x3e9e377a, v42
	;; [unrolled: 1-line block ×3, first 2 shown]
	v_add_f32_e32 v42, v41, v31
	v_fmac_f32_e32 v81, -0.5, v42
	v_mov_b32_e32 v42, v81
	v_sub_f32_e32 v41, v108, v41
	v_sub_f32_e32 v31, v38, v31
	v_fmac_f32_e32 v81, 0x3f737871, v37
	v_fmac_f32_e32 v42, 0xbf737871, v37
	v_add_f32_e32 v31, v41, v31
	v_fmac_f32_e32 v81, 0xbf167918, v29
	v_fmac_f32_e32 v42, 0x3f167918, v29
	;; [unrolled: 1-line block ×4, first 2 shown]
	v_mul_f32_e32 v41, 0xbf737871, v81
	v_add_f32_e32 v102, v20, v93
	v_mul_f32_e32 v31, 0xbf737871, v42
	v_fmac_f32_e32 v41, 0xbe9e377a, v80
	v_mul_f32_e32 v42, 0x3e9e377a, v42
	v_mul_f32_e32 v81, 0xbe9e377a, v81
	v_sub_f32_e32 v97, v20, v93
	v_add_f32_e32 v20, v19, v115
	v_mul_f32_e32 v29, 0xbf167918, v35
	v_fmac_f32_e32 v31, 0x3e9e377a, v94
	v_add_f32_e32 v99, v12, v41
	v_mul_f32_e32 v107, 0xbf167918, v95
	v_fmac_f32_e32 v42, 0x3f737871, v94
	v_fmac_f32_e32 v81, 0x3f737871, v80
	v_mul_f32_e32 v80, 0xbf4f1bbd, v95
	v_sub_f32_e32 v93, v12, v41
	v_fma_f32 v41, -0.5, v20, v10
	v_fmac_f32_e32 v29, 0x3f4f1bbd, v36
	v_add_f32_e32 v98, v34, v31
	v_fmac_f32_e32 v107, 0xbf4f1bbd, v30
	v_add_f32_e32 v37, v33, v110
	v_mul_f32_e32 v108, 0x3f4f1bbd, v35
	v_add_f32_e32 v35, v109, v42
	v_fmac_f32_e32 v80, 0x3f167918, v30
	v_sub_f32_e32 v96, v34, v31
	v_sub_f32_e32 v34, v33, v110
	v_sub_f32_e32 v33, v109, v42
	v_sub_f32_e32 v20, v16, v118
	v_mov_b32_e32 v42, v41
	v_add_f32_e32 v103, v32, v29
	v_add_f32_e32 v92, v22, v107
	v_fmac_f32_e32 v108, 0x3f167918, v36
	v_add_f32_e32 v36, v114, v81
	v_add_f32_e32 v30, v100, v80
	v_sub_f32_e32 v95, v32, v29
	v_sub_f32_e32 v94, v22, v107
	;; [unrolled: 1-line block ×4, first 2 shown]
	v_fmac_f32_e32 v42, 0xbf737871, v20
	v_sub_f32_e32 v22, v44, v116
	v_sub_f32_e32 v80, v18, v19
	v_sub_f32_e32 v81, v117, v115
	v_fmac_f32_e32 v41, 0x3f737871, v20
	v_fmac_f32_e32 v42, 0xbf167918, v22
	v_add_f32_e32 v80, v80, v81
	v_fmac_f32_e32 v41, 0x3f167918, v22
	v_fmac_f32_e32 v42, 0x3e9e377a, v80
	;; [unrolled: 1-line block ×3, first 2 shown]
	v_add_f32_e32 v80, v18, v117
	v_add_f32_e32 v12, v10, v18
	v_fmac_f32_e32 v10, -0.5, v80
	v_mov_b32_e32 v81, v10
	v_fmac_f32_e32 v81, 0x3f737871, v22
	v_fmac_f32_e32 v10, 0xbf737871, v22
	;; [unrolled: 1-line block ×4, first 2 shown]
	v_add_f32_e32 v20, v27, v16
	v_add_f32_e32 v20, v20, v44
	;; [unrolled: 1-line block ×6, first 2 shown]
	v_sub_f32_e32 v32, v112, v108
	v_fma_f32 v108, -0.5, v20, v27
	v_sub_f32_e32 v80, v19, v18
	v_sub_f32_e32 v18, v18, v117
	v_mov_b32_e32 v109, v108
	v_add_f32_e32 v12, v12, v19
	v_fmac_f32_e32 v109, 0x3f737871, v18
	v_sub_f32_e32 v19, v19, v115
	v_sub_f32_e32 v20, v16, v44
	;; [unrolled: 1-line block ×3, first 2 shown]
	v_fmac_f32_e32 v108, 0xbf737871, v18
	v_fmac_f32_e32 v109, 0x3f167918, v19
	v_add_f32_e32 v20, v20, v22
	v_fmac_f32_e32 v108, 0xbf167918, v19
	v_fmac_f32_e32 v109, 0x3e9e377a, v20
	;; [unrolled: 1-line block ×3, first 2 shown]
	v_add_f32_e32 v20, v16, v118
	v_fmac_f32_e32 v27, -0.5, v20
	v_mov_b32_e32 v110, v27
	v_fmac_f32_e32 v110, 0xbf737871, v19
	v_sub_f32_e32 v16, v44, v16
	v_sub_f32_e32 v20, v116, v118
	v_fmac_f32_e32 v27, 0x3f737871, v19
	v_fmac_f32_e32 v110, 0x3f167918, v18
	v_add_f32_e32 v16, v16, v20
	v_fmac_f32_e32 v27, 0xbf167918, v18
	v_fmac_f32_e32 v110, 0x3e9e377a, v16
	;; [unrolled: 1-line block ×3, first 2 shown]
	v_add_f32_e32 v16, v15, v40
	v_add_f32_e32 v16, v16, v43
	;; [unrolled: 1-line block ×5, first 2 shown]
	v_sub_f32_e32 v100, v115, v117
	v_fma_f32 v19, -0.5, v16, v15
	v_add_f32_e32 v80, v80, v100
	v_sub_f32_e32 v16, v39, v23
	v_mov_b32_e32 v20, v19
	v_fmac_f32_e32 v81, 0x3e9e377a, v80
	v_fmac_f32_e32 v10, 0x3e9e377a, v80
	;; [unrolled: 1-line block ×3, first 2 shown]
	v_sub_f32_e32 v22, v21, v28
	v_sub_f32_e32 v44, v40, v43
	;; [unrolled: 1-line block ×3, first 2 shown]
	v_fmac_f32_e32 v19, 0x3f737871, v16
	v_fmac_f32_e32 v20, 0xbf167918, v22
	v_add_f32_e32 v44, v44, v80
	v_fmac_f32_e32 v19, 0x3f167918, v22
	v_fmac_f32_e32 v20, 0x3e9e377a, v44
	;; [unrolled: 1-line block ×3, first 2 shown]
	v_add_f32_e32 v44, v40, v101
	v_fmac_f32_e32 v15, -0.5, v44
	v_mov_b32_e32 v44, v15
	v_fmac_f32_e32 v44, 0x3f737871, v22
	v_fmac_f32_e32 v15, 0xbf737871, v22
	;; [unrolled: 1-line block ×4, first 2 shown]
	v_add_f32_e32 v16, v17, v39
	v_add_f32_e32 v16, v16, v21
	;; [unrolled: 1-line block ×5, first 2 shown]
	v_sub_f32_e32 v80, v43, v40
	v_sub_f32_e32 v100, v82, v101
	v_fma_f32 v112, -0.5, v16, v17
	v_add_f32_e32 v80, v80, v100
	v_sub_f32_e32 v16, v40, v101
	v_mov_b32_e32 v40, v112
	v_fmac_f32_e32 v44, 0x3e9e377a, v80
	v_fmac_f32_e32 v15, 0x3e9e377a, v80
	;; [unrolled: 1-line block ×3, first 2 shown]
	v_sub_f32_e32 v22, v43, v82
	v_sub_f32_e32 v43, v39, v21
	;; [unrolled: 1-line block ×3, first 2 shown]
	v_fmac_f32_e32 v112, 0xbf737871, v16
	v_fmac_f32_e32 v40, 0x3f167918, v22
	v_add_f32_e32 v43, v43, v80
	v_fmac_f32_e32 v112, 0xbf167918, v22
	v_fmac_f32_e32 v40, 0x3e9e377a, v43
	;; [unrolled: 1-line block ×3, first 2 shown]
	v_add_f32_e32 v43, v39, v23
	v_fmac_f32_e32 v17, -0.5, v43
	v_mov_b32_e32 v43, v17
	v_sub_f32_e32 v21, v21, v39
	v_sub_f32_e32 v23, v28, v23
	v_fmac_f32_e32 v17, 0x3f737871, v22
	v_add_f32_e32 v21, v21, v23
	v_fmac_f32_e32 v17, 0xbf167918, v16
	v_add_f32_e32 v12, v12, v115
	v_fmac_f32_e32 v43, 0xbf737871, v22
	v_fmac_f32_e32 v17, 0x3e9e377a, v21
	v_add_f32_e32 v12, v12, v117
	v_fmac_f32_e32 v43, 0x3f167918, v16
	v_mul_f32_e32 v28, 0xbf167918, v40
	v_mul_f32_e32 v114, 0xbf737871, v17
	;; [unrolled: 1-line block ×3, first 2 shown]
	v_fmac_f32_e32 v43, 0x3e9e377a, v21
	v_add_f32_e32 v100, v12, v18
	v_fmac_f32_e32 v28, 0x3f4f1bbd, v20
	v_fmac_f32_e32 v114, 0xbe9e377a, v15
	v_mul_f32_e32 v115, 0xbf167918, v112
	v_fmac_f32_e32 v117, 0x3f737871, v15
	v_mul_f32_e32 v15, 0xbf4f1bbd, v112
	v_sub_f32_e32 v21, v12, v18
	v_add_f32_e32 v12, v88, v105
	v_add_f32_e32 v101, v42, v28
	v_mul_f32_e32 v113, 0xbf737871, v43
	v_fmac_f32_e32 v115, 0xbf4f1bbd, v19
	v_add_f32_e32 v80, v107, v111
	v_mul_f32_e32 v40, 0x3f4f1bbd, v40
	v_fmac_f32_e32 v15, 0x3f167918, v19
	v_sub_f32_e32 v19, v42, v28
	v_sub_f32_e32 v42, v107, v111
	v_fma_f32 v107, -0.5, v12, v8
	v_fmac_f32_e32 v113, 0x3e9e377a, v44
	v_fmac_f32_e32 v40, 0x3f167918, v20
	v_add_f32_e32 v39, v108, v15
	v_sub_f32_e32 v28, v108, v15
	v_sub_f32_e32 v12, v9, v104
	v_mov_b32_e32 v108, v107
	v_add_f32_e32 v22, v81, v113
	v_add_f32_e32 v82, v109, v40
	v_sub_f32_e32 v20, v81, v113
	v_sub_f32_e32 v40, v109, v40
	v_fmac_f32_e32 v108, 0xbf737871, v12
	v_sub_f32_e32 v15, v85, v91
	v_sub_f32_e32 v81, v14, v88
	;; [unrolled: 1-line block ×3, first 2 shown]
	v_fmac_f32_e32 v107, 0x3f737871, v12
	v_fmac_f32_e32 v108, 0xbf167918, v15
	v_add_f32_e32 v81, v81, v109
	v_fmac_f32_e32 v107, 0x3f167918, v15
	v_fmac_f32_e32 v108, 0x3e9e377a, v81
	;; [unrolled: 1-line block ×3, first 2 shown]
	v_add_f32_e32 v81, v14, v106
	v_add_f32_e32 v23, v10, v114
	v_sub_f32_e32 v17, v10, v114
	v_add_f32_e32 v10, v8, v14
	v_fmac_f32_e32 v8, -0.5, v81
	v_mov_b32_e32 v109, v8
	v_fmac_f32_e32 v109, 0x3f737871, v15
	v_fmac_f32_e32 v8, 0xbf737871, v15
	v_mul_f32_e32 v116, 0x3e9e377a, v43
	v_fmac_f32_e32 v109, 0xbf167918, v12
	v_fmac_f32_e32 v8, 0x3f167918, v12
	v_add_f32_e32 v12, v87, v9
	v_fmac_f32_e32 v116, 0x3f737871, v44
	v_add_f32_e32 v12, v12, v85
	v_add_f32_e32 v16, v41, v115
	;; [unrolled: 1-line block ×3, first 2 shown]
	v_sub_f32_e32 v18, v41, v115
	v_sub_f32_e32 v41, v110, v116
	;; [unrolled: 1-line block ×4, first 2 shown]
	v_add_f32_e32 v12, v12, v91
	v_add_f32_e32 v10, v10, v88
	;; [unrolled: 1-line block ×6, first 2 shown]
	v_fma_f32 v111, -0.5, v12, v87
	v_add_f32_e32 v10, v10, v106
	v_sub_f32_e32 v12, v14, v106
	v_mov_b32_e32 v106, v111
	v_fmac_f32_e32 v109, 0x3e9e377a, v81
	v_fmac_f32_e32 v8, 0x3e9e377a, v81
	;; [unrolled: 1-line block ×3, first 2 shown]
	v_sub_f32_e32 v14, v88, v105
	v_sub_f32_e32 v15, v9, v85
	;; [unrolled: 1-line block ×3, first 2 shown]
	v_fmac_f32_e32 v111, 0xbf737871, v12
	v_fmac_f32_e32 v106, 0x3f167918, v14
	v_add_f32_e32 v15, v15, v81
	v_fmac_f32_e32 v111, 0xbf167918, v14
	v_fmac_f32_e32 v106, 0x3e9e377a, v15
	;; [unrolled: 1-line block ×3, first 2 shown]
	v_add_f32_e32 v15, v9, v104
	v_fmac_f32_e32 v87, -0.5, v15
	v_mov_b32_e32 v88, v87
	v_fmac_f32_e32 v88, 0xbf737871, v14
	v_sub_f32_e32 v9, v85, v9
	v_sub_f32_e32 v15, v91, v104
	v_fmac_f32_e32 v87, 0x3f737871, v14
	v_fmac_f32_e32 v88, 0x3f167918, v12
	v_add_f32_e32 v9, v9, v15
	v_fmac_f32_e32 v87, 0xbf167918, v12
	v_fmac_f32_e32 v88, 0x3e9e377a, v9
	;; [unrolled: 1-line block ×3, first 2 shown]
	v_add_f32_e32 v9, v11, v83
	v_add_f32_e32 v9, v9, v86
	;; [unrolled: 1-line block ×5, first 2 shown]
	v_fma_f32 v81, -0.5, v9, v11
	v_sub_f32_e32 v9, v24, v26
	v_mov_b32_e32 v85, v81
	v_fmac_f32_e32 v85, 0xbf737871, v9
	v_sub_f32_e32 v14, v25, v84
	v_sub_f32_e32 v15, v83, v86
	;; [unrolled: 1-line block ×3, first 2 shown]
	v_fmac_f32_e32 v81, 0x3f737871, v9
	v_fmac_f32_e32 v85, 0xbf167918, v14
	v_add_f32_e32 v15, v15, v91
	v_fmac_f32_e32 v81, 0x3f167918, v14
	v_fmac_f32_e32 v85, 0x3e9e377a, v15
	;; [unrolled: 1-line block ×3, first 2 shown]
	v_add_f32_e32 v15, v83, v90
	v_fmac_f32_e32 v11, -0.5, v15
	v_mov_b32_e32 v104, v11
	v_fmac_f32_e32 v104, 0x3f737871, v14
	v_fmac_f32_e32 v11, 0xbf737871, v14
	;; [unrolled: 1-line block ×4, first 2 shown]
	v_add_f32_e32 v9, v13, v24
	v_add_f32_e32 v9, v9, v25
	;; [unrolled: 1-line block ×5, first 2 shown]
	v_sub_f32_e32 v15, v86, v83
	v_sub_f32_e32 v91, v89, v90
	v_fma_f32 v112, -0.5, v9, v13
	v_add_f32_e32 v15, v15, v91
	v_sub_f32_e32 v9, v83, v90
	v_mov_b32_e32 v83, v112
	v_fmac_f32_e32 v104, 0x3e9e377a, v15
	v_fmac_f32_e32 v11, 0x3e9e377a, v15
	;; [unrolled: 1-line block ×3, first 2 shown]
	v_sub_f32_e32 v14, v86, v89
	v_sub_f32_e32 v15, v24, v25
	;; [unrolled: 1-line block ×3, first 2 shown]
	v_fmac_f32_e32 v112, 0xbf737871, v9
	v_fmac_f32_e32 v83, 0x3f167918, v14
	v_add_f32_e32 v15, v15, v86
	v_fmac_f32_e32 v112, 0xbf167918, v14
	v_fmac_f32_e32 v83, 0x3e9e377a, v15
	;; [unrolled: 1-line block ×3, first 2 shown]
	v_add_f32_e32 v15, v24, v26
	v_fmac_f32_e32 v13, -0.5, v15
	v_mov_b32_e32 v86, v13
	v_fmac_f32_e32 v86, 0xbf737871, v14
	v_sub_f32_e32 v15, v25, v24
	v_sub_f32_e32 v24, v84, v26
	v_fmac_f32_e32 v86, 0x3f167918, v9
	v_add_f32_e32 v15, v15, v24
	v_fmac_f32_e32 v13, 0x3f737871, v14
	v_fmac_f32_e32 v86, 0x3e9e377a, v15
	v_fmac_f32_e32 v13, 0xbf167918, v9
	v_fmac_f32_e32 v13, 0x3e9e377a, v15
	v_mul_f32_e32 v26, 0xbf167918, v83
	v_mul_f32_e32 v84, 0xbf737871, v86
	;; [unrolled: 1-line block ×3, first 2 shown]
	v_fmac_f32_e32 v26, 0x3f4f1bbd, v85
	v_fmac_f32_e32 v84, 0x3e9e377a, v104
	v_mul_f32_e32 v113, 0xbf737871, v13
	v_fmac_f32_e32 v86, 0x3f737871, v104
	v_mul_f32_e32 v104, 0xbe9e377a, v13
	v_add_f32_e32 v25, v108, v26
	v_fmac_f32_e32 v113, 0xbe9e377a, v11
	v_fmac_f32_e32 v104, 0x3f737871, v11
	v_sub_f32_e32 v11, v108, v26
	v_mov_b32_e32 v26, 2
	v_mul_f32_e32 v114, 0xbf167918, v112
	v_lshlrev_b32_sdwa v7, v26, v7 dst_sel:DWORD dst_unused:UNUSED_PAD src0_sel:DWORD src1_sel:BYTE_0
	v_fmac_f32_e32 v114, 0xbf4f1bbd, v81
	v_mul_f32_e32 v115, 0x3f4f1bbd, v83
	v_add_f32_e32 v89, v87, v104
	v_mul_f32_e32 v112, 0xbf4f1bbd, v112
	v_sub_f32_e32 v87, v87, v104
	v_add3_u32 v104, 0, v6, v7
	v_lshlrev_b32_sdwa v5, v26, v5 dst_sel:DWORD dst_unused:UNUSED_PAD src0_sel:DWORD src1_sel:BYTE_0
	v_add_f32_e32 v44, v27, v117
	v_sub_f32_e32 v27, v27, v117
	v_add_f32_e32 v24, v10, v12
	v_add_f32_e32 v14, v109, v84
	;; [unrolled: 1-line block ×4, first 2 shown]
	v_fmac_f32_e32 v115, 0x3f167918, v85
	v_fmac_f32_e32 v112, 0x3f167918, v81
	v_sub_f32_e32 v13, v10, v12
	v_sub_f32_e32 v12, v109, v84
	;; [unrolled: 1-line block ×4, first 2 shown]
	s_barrier
	ds_write2_b32 v104, v102, v103 offset1:3
	ds_write2_b32 v104, v98, v99 offset0:6 offset1:9
	ds_write2_b32 v104, v92, v97 offset0:12 offset1:15
	ds_write2_b32 v104, v95, v96 offset0:18 offset1:21
	ds_write2_b32 v104, v93, v94 offset0:24 offset1:27
	v_add3_u32 v95, 0, v4, v5
	v_add3_u32 v99, 0, v2, v3
	v_add_f32_e32 v90, v110, v105
	v_add_f32_e32 v91, v106, v115
	v_add_f32_e32 v83, v88, v86
	v_add_f32_e32 v81, v111, v112
	v_sub_f32_e32 v84, v110, v105
	v_sub_f32_e32 v85, v106, v115
	v_sub_f32_e32 v86, v88, v86
	v_sub_f32_e32 v88, v111, v112
	ds_write2_b32 v95, v100, v101 offset1:3
	ds_write2_b32 v95, v22, v23 offset0:6 offset1:9
	ds_write2_b32 v95, v16, v21 offset0:12 offset1:15
	;; [unrolled: 1-line block ×4, first 2 shown]
	ds_write2_b32 v99, v24, v25 offset1:3
	ds_write2_b32 v99, v14, v15 offset0:6 offset1:9
	ds_write2_b32 v99, v9, v13 offset0:12 offset1:15
	;; [unrolled: 1-line block ×4, first 2 shown]
	s_waitcnt lgkmcnt(0)
	s_barrier
	ds_read_b32 v97, v76
	ds_read_b32 v96, v74
	ds_read2_b32 v[18:19], v53 offset0:56 offset1:146
	ds_read2_b32 v[16:17], v46 offset0:108 offset1:198
	;; [unrolled: 1-line block ×6, first 2 shown]
	ds_read_b32 v94, v49
	ds_read_b32 v93, v52
	ds_read2_b32 v[24:25], v77 offset0:104 offset1:194
	ds_read2_b32 v[22:23], v78 offset0:118 offset1:208
	;; [unrolled: 1-line block ×6, first 2 shown]
	ds_read_b32 v98, v75
	ds_read_b32 v92, v55
	s_waitcnt lgkmcnt(0)
	s_barrier
	ds_write2_b32 v104, v37, v38 offset1:3
	ds_write2_b32 v104, v35, v36 offset0:6 offset1:9
	ds_write2_b32 v104, v30, v34 offset0:12 offset1:15
	ds_write2_b32 v104, v32, v33 offset0:18 offset1:21
	ds_write2_b32 v104, v29, v31 offset0:24 offset1:27
	ds_write2_b32 v95, v80, v82 offset1:3
	ds_write2_b32 v95, v43, v44 offset0:6 offset1:9
	ds_write2_b32 v95, v39, v42 offset0:12 offset1:15
	ds_write2_b32 v95, v40, v41 offset0:18 offset1:21
	ds_write2_b32 v95, v27, v28 offset0:24 offset1:27
	;; [unrolled: 5-line block ×3, first 2 shown]
	v_mul_lo_u16_sdwa v27, v63, s0 dst_sel:DWORD dst_unused:UNUSED_PAD src0_sel:BYTE_0 src1_sel:DWORD
	v_lshrrev_b16_e32 v31, 12, v27
	v_mul_lo_u16_e32 v27, 30, v31
	v_sub_u16_e32 v32, v63, v27
	v_mul_u32_u24_sdwa v27, v32, v79 dst_sel:DWORD dst_unused:UNUSED_PAD src0_sel:BYTE_0 src1_sel:DWORD
	v_lshlrev_b32_e32 v35, 3, v27
	v_mul_lo_u16_sdwa v27, v71, s0 dst_sel:DWORD dst_unused:UNUSED_PAD src0_sel:BYTE_0 src1_sel:DWORD
	v_lshrrev_b16_e32 v30, 12, v27
	v_mul_lo_u16_e32 v27, 30, v30
	v_sub_u16_e32 v29, v71, v27
	s_waitcnt lgkmcnt(0)
	s_barrier
	global_load_dwordx4 v[40:43], v35, s[8:9] offset:216
	v_mul_u32_u24_sdwa v27, v29, v79 dst_sel:DWORD dst_unused:UNUSED_PAD src0_sel:BYTE_0 src1_sel:DWORD
	v_lshlrev_b32_e32 v44, 3, v27
	global_load_dwordx4 v[79:82], v44, s[8:9] offset:216
	s_mov_b32 s0, 0x8889
	v_mul_u32_u24_sdwa v27, v72, s0 dst_sel:DWORD dst_unused:UNUSED_PAD src0_sel:WORD_0 src1_sel:DWORD
	v_lshrrev_b32_e32 v27, 20, v27
	v_mul_lo_u16_e32 v28, 30, v27
	v_sub_u16_e32 v28, v72, v28
	v_mul_u32_u24_e32 v33, 9, v28
	v_lshlrev_b32_e32 v95, 3, v33
	global_load_dwordx4 v[84:87], v95, s[8:9] offset:216
	global_load_dwordx4 v[88:91], v35, s[8:9] offset:232
	;; [unrolled: 1-line block ×6, first 2 shown]
	global_load_dwordx2 v[33:34], v35, s[8:9] offset:280
	global_load_dwordx4 v[115:118], v44, s[8:9] offset:248
	ds_read_b32 v36, v75
	ds_read_b32 v37, v76
	;; [unrolled: 1-line block ×5, first 2 shown]
	ds_read2_b32 v[126:127], v77 offset0:104 offset1:194
	ds_read2_b32 v[77:78], v78 offset0:118 offset1:208
	ds_read_b32 v83, v55
	global_load_dwordx4 v[119:122], v44, s[8:9] offset:264
	v_mul_u32_u24_e32 v31, 0x4b0, v31
	v_lshlrev_b32_sdwa v32, v26, v32 dst_sel:DWORD dst_unused:UNUSED_PAD src0_sel:DWORD src1_sel:BYTE_0
	v_mul_u32_u24_e32 v30, 0x4b0, v30
	v_lshlrev_b32_sdwa v26, v26, v29 dst_sel:DWORD dst_unused:UNUSED_PAD src0_sel:DWORD src1_sel:BYTE_0
	s_waitcnt vmcnt(10) lgkmcnt(7)
	v_mul_f32_e32 v39, v36, v41
	v_mul_f32_e32 v41, v98, v41
	v_fmac_f32_e32 v39, v98, v40
	v_fma_f32 v40, v36, v40, -v41
	s_waitcnt lgkmcnt(6)
	v_mul_f32_e32 v132, v37, v43
	v_mul_f32_e32 v36, v97, v43
	v_fmac_f32_e32 v132, v97, v42
	global_load_dwordx2 v[97:98], v44, s[8:9] offset:280
	v_fma_f32 v133, v37, v42, -v36
	s_waitcnt vmcnt(10) lgkmcnt(2)
	v_mul_f32_e32 v36, v126, v80
	v_fmac_f32_e32 v36, v24, v79
	v_mul_f32_e32 v24, v24, v80
	v_fma_f32 v37, v126, v79, -v24
	s_waitcnt lgkmcnt(1)
	v_mul_f32_e32 v24, v77, v82
	global_load_dwordx4 v[123:126], v95, s[8:9] offset:248
	v_fmac_f32_e32 v24, v22, v81
	v_mul_f32_e32 v22, v22, v82
	s_waitcnt vmcnt(10)
	v_mul_f32_e32 v79, v127, v85
	v_fma_f32 v22, v77, v81, -v22
	v_fmac_f32_e32 v79, v25, v84
	v_mul_f32_e32 v25, v25, v85
	v_mul_f32_e32 v77, v78, v87
	v_fma_f32 v81, v127, v84, -v25
	global_load_dwordx4 v[127:130], v95, s[8:9] offset:264
	v_fmac_f32_e32 v77, v23, v86
	v_mul_f32_e32 v23, v23, v87
	v_fma_f32 v44, v78, v86, -v23
	s_waitcnt vmcnt(10)
	v_mul_f32_e32 v25, v131, v89
	v_mul_f32_e32 v23, v96, v89
	v_fmac_f32_e32 v25, v96, v88
	v_fma_f32 v23, v131, v88, -v23
	global_load_dwordx2 v[88:89], v95, s[8:9] offset:280
	ds_read2_b32 v[41:42], v53 offset0:56 offset1:146
	ds_read2_b32 v[84:85], v51 offset0:132 offset1:222
	s_waitcnt lgkmcnt(1)
	v_mul_f32_e32 v131, v41, v91
	v_fmac_f32_e32 v131, v18, v90
	v_mul_f32_e32 v18, v18, v91
	v_fma_f32 v134, v41, v90, -v18
	s_waitcnt vmcnt(10)
	v_mul_f32_e32 v18, v42, v102
	v_fmac_f32_e32 v18, v19, v101
	v_mul_f32_e32 v19, v19, v102
	v_fma_f32 v78, v42, v101, -v19
	ds_read2_b32 v[42:43], v46 offset0:108 offset1:198
	ds_read2_b32 v[86:87], v60 offset0:84 offset1:174
	s_waitcnt lgkmcnt(2)
	v_mul_f32_e32 v41, v84, v100
	v_fmac_f32_e32 v41, v20, v99
	v_mul_f32_e32 v19, v20, v100
	s_waitcnt vmcnt(9)
	v_mul_f32_e32 v82, v85, v104
	v_mul_f32_e32 v20, v21, v104
	ds_read2_b32 v[90:91], v50 offset0:8 offset1:98
	ds_read2_b32 v[95:96], v47 offset0:112 offset1:202
	v_fmac_f32_e32 v82, v21, v103
	v_fma_f32 v80, v85, v103, -v20
	s_waitcnt vmcnt(8) lgkmcnt(2)
	v_mul_f32_e32 v103, v86, v110
	v_fma_f32 v19, v84, v99, -v19
	v_mul_f32_e32 v84, v42, v106
	v_fmac_f32_e32 v103, v14, v109
	v_mul_f32_e32 v14, v14, v110
	v_fmac_f32_e32 v84, v16, v105
	v_mul_f32_e32 v16, v16, v106
	v_fma_f32 v104, v86, v109, -v14
	ds_read2_b32 v[85:86], v57 offset0:160 offset1:250
	ds_read2_b32 v[99:100], v56 offset0:36 offset1:126
	v_fma_f32 v16, v42, v105, -v16
	s_waitcnt vmcnt(7) lgkmcnt(3)
	v_mul_f32_e32 v105, v91, v112
	v_fmac_f32_e32 v105, v5, v111
	v_mul_f32_e32 v5, v5, v112
	v_fma_f32 v5, v91, v111, -v5
	s_waitcnt lgkmcnt(2)
	v_mul_f32_e32 v91, v95, v114
	v_fmac_f32_e32 v91, v8, v113
	v_mul_f32_e32 v8, v8, v114
	v_fma_f32 v8, v95, v113, -v8
	s_waitcnt vmcnt(6) lgkmcnt(0)
	v_mul_f32_e32 v95, v100, v34
	v_fmac_f32_e32 v95, v3, v33
	v_mul_f32_e32 v3, v3, v34
	v_mul_f32_e32 v101, v43, v108
	v_fma_f32 v3, v100, v33, -v3
	ds_read2_b32 v[33:34], v73 offset0:88 offset1:178
	v_fmac_f32_e32 v101, v17, v107
	v_mul_f32_e32 v17, v17, v108
	s_waitcnt vmcnt(5)
	v_mul_f32_e32 v106, v87, v118
	v_mul_f32_e32 v14, v15, v118
	v_fma_f32 v102, v43, v107, -v17
	v_fmac_f32_e32 v106, v15, v117
	v_fma_f32 v107, v87, v117, -v14
	ds_read2_b32 v[14:15], v54 offset0:60 offset1:150
	v_mul_f32_e32 v21, v85, v116
	s_waitcnt vmcnt(3) lgkmcnt(1)
	v_mul_f32_e32 v110, v33, v98
	v_mul_f32_e32 v100, v96, v122
	v_fmac_f32_e32 v110, v6, v97
	v_mul_f32_e32 v6, v6, v98
	v_fmac_f32_e32 v21, v12, v115
	;; [unrolled: 2-line block ×3, first 2 shown]
	v_mul_f32_e32 v9, v9, v122
	s_waitcnt lgkmcnt(0)
	v_mul_f32_e32 v108, v14, v120
	v_fma_f32 v43, v33, v97, -v6
	s_waitcnt vmcnt(2)
	v_mul_f32_e32 v6, v13, v124
	v_fma_f32 v20, v85, v115, -v12
	v_fmac_f32_e32 v108, v10, v119
	v_fma_f32 v109, v96, v121, -v9
	v_mul_f32_e32 v9, v10, v120
	v_mul_f32_e32 v12, v86, v124
	v_fma_f32 v10, v86, v123, -v6
	v_mul_f32_e32 v86, v90, v126
	v_fmac_f32_e32 v86, v4, v125
	v_mul_f32_e32 v4, v4, v126
	v_fma_f32 v42, v14, v119, -v9
	v_fma_f32 v17, v90, v125, -v4
	s_waitcnt vmcnt(1)
	v_mul_f32_e32 v14, v15, v128
	v_mul_f32_e32 v4, v11, v128
	v_fmac_f32_e32 v14, v11, v127
	v_fma_f32 v11, v15, v127, -v4
	v_mul_f32_e32 v87, v99, v130
	v_add_f32_e32 v4, v131, v103
	v_fmac_f32_e32 v87, v2, v129
	v_mul_f32_e32 v2, v2, v130
	s_waitcnt vmcnt(0)
	v_mul_f32_e32 v15, v34, v89
	v_fma_f32 v4, -0.5, v4, v94
	v_fma_f32 v85, v99, v129, -v2
	v_fmac_f32_e32 v15, v7, v88
	v_mul_f32_e32 v2, v7, v89
	v_sub_f32_e32 v6, v133, v8
	v_mov_b32_e32 v7, v4
	v_fmac_f32_e32 v12, v13, v123
	v_fma_f32 v13, v34, v88, -v2
	v_fmac_f32_e32 v7, 0xbf737871, v6
	v_sub_f32_e32 v9, v134, v104
	v_sub_f32_e32 v33, v132, v131
	;; [unrolled: 1-line block ×3, first 2 shown]
	v_fmac_f32_e32 v4, 0x3f737871, v6
	v_fmac_f32_e32 v7, 0xbf167918, v9
	v_add_f32_e32 v33, v33, v34
	v_fmac_f32_e32 v4, 0x3f167918, v9
	v_fmac_f32_e32 v7, 0x3e9e377a, v33
	;; [unrolled: 1-line block ×3, first 2 shown]
	v_add_f32_e32 v33, v132, v91
	v_add_f32_e32 v2, v94, v132
	v_fmac_f32_e32 v94, -0.5, v33
	v_mov_b32_e32 v88, v94
	v_fmac_f32_e32 v88, 0x3f737871, v9
	v_fmac_f32_e32 v94, 0xbf737871, v9
	v_add_f32_e32 v9, v134, v104
	v_sub_f32_e32 v33, v131, v132
	v_sub_f32_e32 v34, v103, v91
	v_fma_f32 v111, -0.5, v9, v38
	v_fmac_f32_e32 v88, 0xbf167918, v6
	v_add_f32_e32 v33, v33, v34
	v_fmac_f32_e32 v94, 0x3f167918, v6
	v_sub_f32_e32 v9, v132, v91
	v_mov_b32_e32 v112, v111
	v_fmac_f32_e32 v88, 0x3e9e377a, v33
	v_fmac_f32_e32 v94, 0x3e9e377a, v33
	;; [unrolled: 1-line block ×3, first 2 shown]
	v_sub_f32_e32 v33, v131, v103
	v_sub_f32_e32 v34, v133, v134
	;; [unrolled: 1-line block ×3, first 2 shown]
	v_fmac_f32_e32 v111, 0xbf737871, v9
	v_fmac_f32_e32 v112, 0x3f167918, v33
	v_add_f32_e32 v34, v34, v89
	v_fmac_f32_e32 v111, 0xbf167918, v33
	v_add_f32_e32 v6, v38, v133
	v_fmac_f32_e32 v112, 0x3e9e377a, v34
	v_fmac_f32_e32 v111, 0x3e9e377a, v34
	v_add_f32_e32 v34, v133, v8
	v_add_f32_e32 v2, v2, v131
	;; [unrolled: 1-line block ×3, first 2 shown]
	v_fmac_f32_e32 v38, -0.5, v34
	v_add_f32_e32 v2, v2, v103
	v_add_f32_e32 v6, v6, v104
	v_mov_b32_e32 v103, v38
	v_add_f32_e32 v6, v6, v8
	v_fmac_f32_e32 v103, 0xbf737871, v33
	v_sub_f32_e32 v34, v134, v133
	v_sub_f32_e32 v8, v104, v8
	v_fmac_f32_e32 v38, 0x3f737871, v33
	v_fmac_f32_e32 v103, 0x3f167918, v9
	v_add_f32_e32 v8, v34, v8
	v_fmac_f32_e32 v38, 0xbf167918, v9
	v_fmac_f32_e32 v103, 0x3e9e377a, v8
	;; [unrolled: 1-line block ×3, first 2 shown]
	v_add_f32_e32 v8, v39, v25
	v_add_f32_e32 v8, v8, v101
	;; [unrolled: 1-line block ×6, first 2 shown]
	v_fma_f32 v91, -0.5, v8, v39
	v_sub_f32_e32 v8, v23, v3
	v_mov_b32_e32 v9, v91
	v_fmac_f32_e32 v9, 0xbf737871, v8
	v_sub_f32_e32 v33, v102, v5
	v_sub_f32_e32 v34, v25, v101
	;; [unrolled: 1-line block ×3, first 2 shown]
	v_fmac_f32_e32 v91, 0x3f737871, v8
	v_fmac_f32_e32 v9, 0xbf167918, v33
	v_add_f32_e32 v34, v34, v89
	v_fmac_f32_e32 v91, 0x3f167918, v33
	v_fmac_f32_e32 v9, 0x3e9e377a, v34
	;; [unrolled: 1-line block ×3, first 2 shown]
	v_add_f32_e32 v34, v25, v95
	v_fmac_f32_e32 v39, -0.5, v34
	v_mov_b32_e32 v96, v39
	v_fmac_f32_e32 v96, 0x3f737871, v33
	v_fmac_f32_e32 v39, 0xbf737871, v33
	;; [unrolled: 1-line block ×4, first 2 shown]
	v_add_f32_e32 v8, v40, v23
	v_add_f32_e32 v8, v8, v102
	;; [unrolled: 1-line block ×5, first 2 shown]
	v_sub_f32_e32 v34, v101, v25
	v_sub_f32_e32 v89, v105, v95
	v_fma_f32 v97, -0.5, v8, v40
	v_add_f32_e32 v34, v34, v89
	v_sub_f32_e32 v8, v25, v95
	v_mov_b32_e32 v25, v97
	v_fmac_f32_e32 v96, 0x3e9e377a, v34
	v_fmac_f32_e32 v39, 0x3e9e377a, v34
	;; [unrolled: 1-line block ×3, first 2 shown]
	v_sub_f32_e32 v33, v101, v105
	v_sub_f32_e32 v34, v23, v102
	;; [unrolled: 1-line block ×3, first 2 shown]
	v_fmac_f32_e32 v97, 0xbf737871, v8
	v_fmac_f32_e32 v25, 0x3f167918, v33
	v_add_f32_e32 v34, v34, v89
	v_fmac_f32_e32 v97, 0xbf167918, v33
	v_fmac_f32_e32 v25, 0x3e9e377a, v34
	;; [unrolled: 1-line block ×3, first 2 shown]
	v_add_f32_e32 v34, v23, v3
	v_fmac_f32_e32 v40, -0.5, v34
	v_mov_b32_e32 v95, v40
	v_sub_f32_e32 v23, v102, v23
	v_sub_f32_e32 v3, v5, v3
	v_fmac_f32_e32 v40, 0x3f737871, v33
	v_fmac_f32_e32 v95, 0xbf737871, v33
	v_add_f32_e32 v3, v23, v3
	v_fmac_f32_e32 v40, 0xbf167918, v8
	v_fmac_f32_e32 v95, 0x3f167918, v8
	;; [unrolled: 1-line block ×3, first 2 shown]
	v_mul_f32_e32 v5, 0xbf167918, v25
	v_mul_f32_e32 v25, 0x3f4f1bbd, v25
	v_fmac_f32_e32 v95, 0x3e9e377a, v3
	v_fmac_f32_e32 v5, 0x3f4f1bbd, v9
	v_mul_f32_e32 v105, 0xbf737871, v40
	v_fmac_f32_e32 v25, 0x3f167918, v9
	v_mul_f32_e32 v40, 0xbe9e377a, v40
	v_add_f32_e32 v102, v7, v5
	v_mul_f32_e32 v23, 0xbf737871, v95
	v_fmac_f32_e32 v105, 0xbe9e377a, v39
	v_mul_f32_e32 v113, 0xbf167918, v97
	v_add_f32_e32 v34, v112, v25
	v_mul_f32_e32 v114, 0x3e9e377a, v95
	v_fmac_f32_e32 v40, 0x3f737871, v39
	v_mul_f32_e32 v39, 0xbf4f1bbd, v97
	v_sub_f32_e32 v95, v7, v5
	v_sub_f32_e32 v5, v112, v25
	v_add_f32_e32 v25, v18, v106
	v_add_f32_e32 v101, v2, v90
	v_fmac_f32_e32 v113, 0xbf4f1bbd, v91
	v_add_f32_e32 v9, v38, v40
	v_fmac_f32_e32 v39, 0x3f167918, v91
	v_sub_f32_e32 v97, v2, v90
	v_sub_f32_e32 v2, v38, v40
	v_fma_f32 v38, -0.5, v25, v93
	v_fmac_f32_e32 v23, 0x3e9e377a, v96
	v_add_f32_e32 v89, v4, v113
	v_add_f32_e32 v3, v111, v39
	v_sub_f32_e32 v91, v4, v113
	v_sub_f32_e32 v4, v111, v39
	v_sub_f32_e32 v25, v22, v109
	v_mov_b32_e32 v39, v38
	v_add_f32_e32 v98, v88, v23
	v_add_f32_e32 v99, v94, v105
	v_fmac_f32_e32 v114, 0x3f737871, v96
	v_sub_f32_e32 v96, v88, v23
	v_sub_f32_e32 v90, v94, v105
	v_fmac_f32_e32 v39, 0xbf737871, v25
	v_sub_f32_e32 v40, v78, v107
	v_sub_f32_e32 v88, v24, v18
	;; [unrolled: 1-line block ×3, first 2 shown]
	v_fmac_f32_e32 v38, 0x3f737871, v25
	v_fmac_f32_e32 v39, 0xbf167918, v40
	v_add_f32_e32 v88, v88, v94
	v_fmac_f32_e32 v38, 0x3f167918, v40
	v_fmac_f32_e32 v39, 0x3e9e377a, v88
	;; [unrolled: 1-line block ×3, first 2 shown]
	v_add_f32_e32 v88, v24, v100
	v_add_f32_e32 v23, v93, v24
	v_fmac_f32_e32 v93, -0.5, v88
	v_mov_b32_e32 v88, v93
	v_fmac_f32_e32 v88, 0x3f737871, v40
	v_fmac_f32_e32 v93, 0xbf737871, v40
	;; [unrolled: 1-line block ×4, first 2 shown]
	v_add_f32_e32 v25, v35, v22
	v_add_f32_e32 v25, v25, v78
	v_add_f32_e32 v25, v25, v107
	v_add_f32_e32 v33, v6, v104
	v_add_f32_e32 v8, v103, v114
	v_sub_f32_e32 v7, v6, v104
	v_sub_f32_e32 v6, v103, v114
	v_sub_f32_e32 v94, v18, v24
	v_sub_f32_e32 v103, v106, v100
	v_add_f32_e32 v40, v25, v109
	v_add_f32_e32 v25, v78, v107
	;; [unrolled: 1-line block ×3, first 2 shown]
	v_fma_f32 v103, -0.5, v25, v35
	v_sub_f32_e32 v24, v24, v100
	v_mov_b32_e32 v104, v103
	v_add_f32_e32 v23, v23, v18
	v_fmac_f32_e32 v88, 0x3e9e377a, v94
	v_fmac_f32_e32 v93, 0x3e9e377a, v94
	;; [unrolled: 1-line block ×3, first 2 shown]
	v_sub_f32_e32 v18, v18, v106
	v_sub_f32_e32 v25, v22, v78
	v_sub_f32_e32 v94, v109, v107
	v_fmac_f32_e32 v103, 0xbf737871, v24
	v_fmac_f32_e32 v104, 0x3f167918, v18
	v_add_f32_e32 v25, v25, v94
	v_fmac_f32_e32 v103, 0xbf167918, v18
	v_fmac_f32_e32 v104, 0x3e9e377a, v25
	;; [unrolled: 1-line block ×3, first 2 shown]
	v_add_f32_e32 v25, v22, v109
	v_fmac_f32_e32 v35, -0.5, v25
	v_mov_b32_e32 v105, v35
	v_fmac_f32_e32 v105, 0xbf737871, v18
	v_fmac_f32_e32 v35, 0x3f737871, v18
	v_add_f32_e32 v18, v36, v41
	v_sub_f32_e32 v22, v78, v22
	v_sub_f32_e32 v25, v107, v109
	v_add_f32_e32 v18, v18, v21
	v_fmac_f32_e32 v105, 0x3f167918, v24
	v_add_f32_e32 v22, v22, v25
	v_fmac_f32_e32 v35, 0xbf167918, v24
	;; [unrolled: 2-line block ×3, first 2 shown]
	v_fmac_f32_e32 v35, 0x3e9e377a, v22
	v_add_f32_e32 v22, v18, v110
	v_add_f32_e32 v18, v21, v108
	v_add_f32_e32 v23, v23, v106
	v_fma_f32 v106, -0.5, v18, v36
	v_sub_f32_e32 v18, v19, v43
	v_mov_b32_e32 v78, v106
	v_fmac_f32_e32 v78, 0xbf737871, v18
	v_sub_f32_e32 v24, v20, v42
	v_sub_f32_e32 v25, v41, v21
	;; [unrolled: 1-line block ×3, first 2 shown]
	v_fmac_f32_e32 v106, 0x3f737871, v18
	v_fmac_f32_e32 v78, 0xbf167918, v24
	v_add_f32_e32 v25, v25, v94
	v_fmac_f32_e32 v106, 0x3f167918, v24
	v_fmac_f32_e32 v78, 0x3e9e377a, v25
	;; [unrolled: 1-line block ×3, first 2 shown]
	v_add_f32_e32 v25, v41, v110
	v_fmac_f32_e32 v36, -0.5, v25
	v_mov_b32_e32 v107, v36
	v_fmac_f32_e32 v107, 0x3f737871, v24
	v_fmac_f32_e32 v36, 0xbf737871, v24
	;; [unrolled: 1-line block ×4, first 2 shown]
	v_add_f32_e32 v18, v37, v19
	v_add_f32_e32 v18, v18, v20
	;; [unrolled: 1-line block ×5, first 2 shown]
	v_sub_f32_e32 v25, v21, v41
	v_sub_f32_e32 v94, v108, v110
	v_fma_f32 v111, -0.5, v18, v37
	v_add_f32_e32 v25, v25, v94
	v_sub_f32_e32 v18, v41, v110
	v_mov_b32_e32 v41, v111
	v_fmac_f32_e32 v107, 0x3e9e377a, v25
	v_fmac_f32_e32 v36, 0x3e9e377a, v25
	;; [unrolled: 1-line block ×3, first 2 shown]
	v_sub_f32_e32 v21, v21, v108
	v_sub_f32_e32 v24, v19, v20
	;; [unrolled: 1-line block ×3, first 2 shown]
	v_fmac_f32_e32 v111, 0xbf737871, v18
	v_fmac_f32_e32 v41, 0x3f167918, v21
	v_add_f32_e32 v24, v24, v25
	v_fmac_f32_e32 v111, 0xbf167918, v21
	v_fmac_f32_e32 v41, 0x3e9e377a, v24
	;; [unrolled: 1-line block ×3, first 2 shown]
	v_add_f32_e32 v24, v19, v43
	v_fmac_f32_e32 v37, -0.5, v24
	v_mov_b32_e32 v108, v37
	v_fmac_f32_e32 v108, 0xbf737871, v21
	v_sub_f32_e32 v19, v20, v19
	v_sub_f32_e32 v20, v42, v43
	v_fmac_f32_e32 v108, 0x3f167918, v18
	v_add_f32_e32 v19, v19, v20
	v_fmac_f32_e32 v108, 0x3e9e377a, v19
	v_fmac_f32_e32 v37, 0x3f737871, v21
	v_mul_f32_e32 v20, 0xbf737871, v108
	v_add_f32_e32 v23, v23, v100
	v_fmac_f32_e32 v37, 0xbf167918, v18
	v_fmac_f32_e32 v20, 0x3e9e377a, v107
	;; [unrolled: 1-line block ×3, first 2 shown]
	v_add_f32_e32 v94, v23, v22
	v_add_f32_e32 v24, v88, v20
	v_sub_f32_e32 v23, v23, v22
	v_sub_f32_e32 v22, v88, v20
	v_add_f32_e32 v88, v92, v77
	v_mul_f32_e32 v19, 0xbf167918, v41
	v_mul_f32_e32 v110, 0xbf737871, v37
	;; [unrolled: 1-line block ×3, first 2 shown]
	v_add_f32_e32 v88, v88, v84
	v_fmac_f32_e32 v19, 0x3f4f1bbd, v78
	v_fmac_f32_e32 v110, 0xbe9e377a, v36
	;; [unrolled: 1-line block ×3, first 2 shown]
	v_mul_f32_e32 v37, 0xbe9e377a, v37
	v_mul_f32_e32 v107, 0xbf4f1bbd, v111
	v_add_f32_e32 v88, v88, v86
	v_add_f32_e32 v100, v39, v19
	;; [unrolled: 1-line block ×3, first 2 shown]
	v_mul_f32_e32 v112, 0xbf167918, v111
	v_mul_f32_e32 v113, 0x3f4f1bbd, v41
	v_fmac_f32_e32 v37, 0x3f737871, v36
	v_fmac_f32_e32 v107, 0x3f167918, v106
	v_sub_f32_e32 v21, v39, v19
	v_sub_f32_e32 v19, v93, v110
	v_add_f32_e32 v93, v88, v87
	v_add_f32_e32 v88, v84, v86
	v_fmac_f32_e32 v112, 0xbf4f1bbd, v106
	v_fmac_f32_e32 v113, 0x3f167918, v78
	v_add_f32_e32 v42, v35, v37
	v_add_f32_e32 v36, v103, v107
	v_sub_f32_e32 v35, v35, v37
	v_sub_f32_e32 v37, v103, v107
	v_fma_f32 v103, -0.5, v88, v92
	v_add_f32_e32 v18, v38, v112
	v_add_f32_e32 v78, v104, v113
	v_sub_f32_e32 v20, v38, v112
	v_sub_f32_e32 v38, v104, v113
	;; [unrolled: 1-line block ×3, first 2 shown]
	v_mov_b32_e32 v104, v103
	v_add_f32_e32 v41, v105, v108
	v_sub_f32_e32 v39, v105, v108
	v_fmac_f32_e32 v104, 0xbf737871, v88
	v_sub_f32_e32 v105, v16, v17
	v_sub_f32_e32 v106, v77, v84
	;; [unrolled: 1-line block ×3, first 2 shown]
	v_fmac_f32_e32 v103, 0x3f737871, v88
	v_fmac_f32_e32 v104, 0xbf167918, v105
	v_add_f32_e32 v106, v106, v107
	v_fmac_f32_e32 v103, 0x3f167918, v105
	v_fmac_f32_e32 v104, 0x3e9e377a, v106
	;; [unrolled: 1-line block ×3, first 2 shown]
	v_add_f32_e32 v106, v77, v87
	v_fmac_f32_e32 v92, -0.5, v106
	v_mov_b32_e32 v106, v92
	v_fmac_f32_e32 v106, 0x3f737871, v105
	v_fmac_f32_e32 v92, 0xbf737871, v105
	;; [unrolled: 1-line block ×4, first 2 shown]
	v_add_f32_e32 v88, v83, v44
	v_add_f32_e32 v88, v88, v16
	v_sub_f32_e32 v107, v84, v77
	v_sub_f32_e32 v108, v86, v87
	v_add_f32_e32 v88, v88, v17
	v_add_f32_e32 v107, v107, v108
	;; [unrolled: 1-line block ×4, first 2 shown]
	v_fmac_f32_e32 v106, 0x3e9e377a, v107
	v_fmac_f32_e32 v92, 0x3e9e377a, v107
	v_fma_f32 v107, -0.5, v88, v83
	v_sub_f32_e32 v77, v77, v87
	v_mov_b32_e32 v108, v107
	v_fmac_f32_e32 v108, 0x3f737871, v77
	v_sub_f32_e32 v84, v84, v86
	v_sub_f32_e32 v86, v44, v16
	;; [unrolled: 1-line block ×3, first 2 shown]
	v_fmac_f32_e32 v107, 0xbf737871, v77
	v_fmac_f32_e32 v108, 0x3f167918, v84
	v_add_f32_e32 v86, v86, v87
	v_fmac_f32_e32 v107, 0xbf167918, v84
	v_fmac_f32_e32 v108, 0x3e9e377a, v86
	;; [unrolled: 1-line block ×3, first 2 shown]
	v_add_f32_e32 v86, v44, v85
	v_fmac_f32_e32 v83, -0.5, v86
	v_add_f32_e32 v43, v40, v109
	v_sub_f32_e32 v40, v40, v109
	v_mov_b32_e32 v109, v83
	v_fmac_f32_e32 v109, 0xbf737871, v84
	v_sub_f32_e32 v16, v16, v44
	v_sub_f32_e32 v17, v17, v85
	v_fmac_f32_e32 v83, 0x3f737871, v84
	v_fmac_f32_e32 v109, 0x3f167918, v77
	v_add_f32_e32 v16, v16, v17
	v_fmac_f32_e32 v83, 0xbf167918, v77
	v_fmac_f32_e32 v109, 0x3e9e377a, v16
	;; [unrolled: 1-line block ×3, first 2 shown]
	v_add_f32_e32 v16, v79, v82
	v_add_f32_e32 v16, v16, v12
	;; [unrolled: 1-line block ×5, first 2 shown]
	v_fma_f32 v86, -0.5, v16, v79
	v_sub_f32_e32 v16, v80, v13
	v_mov_b32_e32 v85, v86
	v_fmac_f32_e32 v85, 0xbf737871, v16
	v_sub_f32_e32 v17, v10, v11
	v_sub_f32_e32 v44, v82, v12
	;; [unrolled: 1-line block ×3, first 2 shown]
	v_fmac_f32_e32 v86, 0x3f737871, v16
	v_fmac_f32_e32 v85, 0xbf167918, v17
	v_add_f32_e32 v44, v44, v77
	v_fmac_f32_e32 v86, 0x3f167918, v17
	v_fmac_f32_e32 v85, 0x3e9e377a, v44
	;; [unrolled: 1-line block ×3, first 2 shown]
	v_add_f32_e32 v44, v82, v15
	v_fmac_f32_e32 v79, -0.5, v44
	v_mov_b32_e32 v110, v79
	v_fmac_f32_e32 v110, 0x3f737871, v17
	v_fmac_f32_e32 v79, 0xbf737871, v17
	;; [unrolled: 1-line block ×4, first 2 shown]
	v_add_f32_e32 v16, v81, v80
	v_add_f32_e32 v16, v16, v10
	;; [unrolled: 1-line block ×5, first 2 shown]
	v_fma_f32 v112, -0.5, v16, v81
	v_sub_f32_e32 v44, v12, v82
	v_sub_f32_e32 v77, v14, v15
	;; [unrolled: 1-line block ×3, first 2 shown]
	v_mov_b32_e32 v82, v112
	v_fmac_f32_e32 v82, 0x3f737871, v15
	v_sub_f32_e32 v12, v12, v14
	v_sub_f32_e32 v14, v80, v10
	;; [unrolled: 1-line block ×3, first 2 shown]
	v_fmac_f32_e32 v112, 0xbf737871, v15
	v_fmac_f32_e32 v82, 0x3f167918, v12
	v_add_f32_e32 v14, v14, v16
	v_fmac_f32_e32 v112, 0xbf167918, v12
	v_fmac_f32_e32 v82, 0x3e9e377a, v14
	;; [unrolled: 1-line block ×3, first 2 shown]
	v_add_f32_e32 v14, v80, v13
	v_fmac_f32_e32 v81, -0.5, v14
	v_mov_b32_e32 v14, v81
	v_fmac_f32_e32 v14, 0xbf737871, v12
	v_sub_f32_e32 v10, v10, v80
	v_sub_f32_e32 v11, v11, v13
	v_fmac_f32_e32 v14, 0x3f167918, v15
	v_add_f32_e32 v10, v10, v11
	v_add_f32_e32 v44, v44, v77
	v_fmac_f32_e32 v14, 0x3e9e377a, v10
	v_fmac_f32_e32 v110, 0x3e9e377a, v44
	;; [unrolled: 1-line block ×3, first 2 shown]
	v_mul_f32_e32 v12, 0xbf737871, v14
	v_mul_f32_e32 v114, 0xbf167918, v112
	v_fmac_f32_e32 v81, 0xbf167918, v15
	v_fmac_f32_e32 v12, 0x3e9e377a, v110
	;; [unrolled: 1-line block ×4, first 2 shown]
	v_add_f32_e32 v16, v106, v12
	v_add_f32_e32 v10, v103, v114
	v_mul_f32_e32 v115, 0x3e9e377a, v14
	v_sub_f32_e32 v14, v106, v12
	v_sub_f32_e32 v12, v103, v114
	v_add3_u32 v103, 0, v31, v32
	s_barrier
	ds_write2_b32 v103, v101, v102 offset1:30
	ds_write2_b32 v103, v98, v99 offset0:60 offset1:90
	ds_write2_b32 v103, v89, v97 offset0:120 offset1:150
	;; [unrolled: 1-line block ×3, first 2 shown]
	v_add3_u32 v98, 0, v30, v26
	v_add_u32_e32 v99, 0x200, v103
	v_add_u32_e32 v101, 0x200, v98
	v_fmac_f32_e32 v79, 0x3e9e377a, v44
	v_mul_f32_e32 v11, 0xbf167918, v82
	v_mul_f32_e32 v113, 0xbf737871, v81
	ds_write2_b32 v99, v90, v91 offset0:112 offset1:142
	ds_write2_b32 v98, v94, v100 offset1:30
	ds_write2_b32 v98, v24, v25 offset0:60 offset1:90
	ds_write2_b32 v98, v18, v23 offset0:120 offset1:150
	;; [unrolled: 1-line block ×4, first 2 shown]
	v_mul_u32_u24_e32 v18, 0x4b0, v27
	v_lshlrev_b32_e32 v19, 2, v28
	v_fmac_f32_e32 v11, 0x3f4f1bbd, v85
	v_fmac_f32_e32 v113, 0xbe9e377a, v79
	v_mul_f32_e32 v82, 0x3f4f1bbd, v82
	v_fmac_f32_e32 v115, 0x3f737871, v110
	v_mul_f32_e32 v110, 0xbe9e377a, v81
	v_mul_f32_e32 v112, 0xbf4f1bbd, v112
	v_add3_u32 v100, 0, v18, v19
	v_add_f32_e32 v44, v93, v84
	v_add_f32_e32 v77, v104, v11
	;; [unrolled: 1-line block ×3, first 2 shown]
	v_fmac_f32_e32 v82, 0x3f167918, v85
	v_fmac_f32_e32 v110, 0x3f737871, v79
	v_fmac_f32_e32 v112, 0x3f167918, v86
	v_sub_f32_e32 v15, v93, v84
	v_sub_f32_e32 v13, v104, v11
	;; [unrolled: 1-line block ×3, first 2 shown]
	v_add_u32_e32 v102, 0x200, v100
	v_add_f32_e32 v87, v105, v111
	v_add_f32_e32 v88, v108, v82
	;; [unrolled: 1-line block ×5, first 2 shown]
	v_sub_f32_e32 v86, v105, v111
	v_sub_f32_e32 v81, v108, v82
	;; [unrolled: 1-line block ×5, first 2 shown]
	ds_write2_b32 v100, v44, v77 offset1:30
	ds_write2_b32 v100, v16, v17 offset0:60 offset1:90
	ds_write2_b32 v100, v10, v15 offset0:120 offset1:150
	;; [unrolled: 1-line block ×4, first 2 shown]
	s_waitcnt lgkmcnt(0)
	s_barrier
	ds_read2_b32 v[28:29], v51 offset0:132 offset1:222
	ds_read2_b32 v[26:27], v50 offset0:8 offset1:98
	;; [unrolled: 1-line block ×4, first 2 shown]
	v_lshl_add_u32 v77, v65, 2, 0
	ds_read2_b32 v[22:23], v46 offset0:108 offset1:198
	ds_read2_b32 v[18:19], v47 offset0:112 offset1:202
	v_lshl_add_u32 v44, v66, 2, 0
	ds_read2_b32 v[12:13], v57 offset0:160 offset1:250
	ds_read2_b32 v[10:11], v56 offset0:36 offset1:126
	v_lshl_add_u32 v89, v68, 2, 0
	ds_read_b32 v97, v49
	ds_read_b32 v96, v52
	;; [unrolled: 1-line block ×6, first 2 shown]
	v_lshl_add_u32 v90, v69, 2, 0
	ds_read_b32 v94, v75
	ds_read_b32 v30, v90
	ds_read2_b32 v[16:17], v60 offset0:84 offset1:174
	ds_read2_b32 v[14:15], v73 offset0:88 offset1:178
	ds_read_b32 v91, v76
	ds_read_b32 v32, v74
	s_waitcnt lgkmcnt(0)
	s_barrier
	ds_write2_b32 v103, v33, v34 offset1:30
	ds_write2_b32 v103, v8, v9 offset0:60 offset1:90
	ds_write2_b32 v103, v3, v7 offset0:120 offset1:150
	ds_write2_b32 v103, v5, v6 offset0:180 offset1:210
	ds_write2_b32 v99, v2, v4 offset0:112 offset1:142
	ds_write2_b32 v98, v43, v78 offset1:30
	ds_write2_b32 v98, v41, v42 offset0:60 offset1:90
	ds_write2_b32 v98, v36, v40 offset0:120 offset1:150
	ds_write2_b32 v98, v38, v39 offset0:180 offset1:210
	ds_write2_b32 v101, v35, v37 offset0:112 offset1:142
	;; [unrolled: 5-line block ×3, first 2 shown]
	v_lshlrev_b32_e32 v6, 1, v63
	v_mov_b32_e32 v7, 0
	v_lshlrev_b64 v[2:3], 3, v[6:7]
	v_mov_b32_e32 v35, s9
	v_add_co_u32_e64 v2, s[0:1], s8, v2
	v_addc_co_u32_e64 v3, s[0:1], v35, v3, s[0:1]
	s_waitcnt lgkmcnt(0)
	s_barrier
	global_load_dwordx4 v[37:40], v[2:3], off offset:2376
	v_lshlrev_b32_e32 v4, 1, v71
	v_mov_b32_e32 v5, v7
	v_lshlrev_b64 v[4:5], 3, v[4:5]
	v_lshlrev_b32_e32 v8, 1, v72
	v_add_co_u32_e64 v4, s[0:1], s8, v4
	v_addc_co_u32_e64 v5, s[0:1], v35, v5, s[0:1]
	global_load_dwordx4 v[78:81], v[4:5], off offset:2376
	v_mov_b32_e32 v9, v7
	v_lshlrev_b64 v[8:9], 3, v[8:9]
	v_subrev_u32_e32 v33, 30, v63
	v_add_co_u32_e64 v8, s[0:1], s8, v8
	v_addc_co_u32_e64 v9, s[0:1], v35, v9, s[0:1]
	v_cmp_gt_u32_e64 s[0:1], 30, v63
	v_cndmask_b32_e64 v36, v33, v64, s[0:1]
	v_lshlrev_b32_e32 v33, 1, v36
	v_mov_b32_e32 v34, v7
	v_lshlrev_b64 v[33:34], 3, v[33:34]
	global_load_dwordx4 v[82:85], v[8:9], off offset:2376
	v_add_co_u32_e64 v33, s[0:1], s8, v33
	v_addc_co_u32_e64 v34, s[0:1], v35, v34, s[0:1]
	global_load_dwordx4 v[98:101], v[33:34], off offset:2376
	v_add_u32_e32 v33, 0x78, v6
	v_mov_b32_e32 v34, v7
	v_lshlrev_b64 v[33:34], 3, v[33:34]
	v_add_u32_e32 v6, 0x12c, v6
	v_add_co_u32_e64 v33, s[0:1], s8, v33
	v_addc_co_u32_e64 v34, s[0:1], v35, v34, s[0:1]
	global_load_dwordx4 v[102:105], v[33:34], off offset:2376
	v_lshlrev_b64 v[33:34], 3, v[6:7]
	ds_read2_b32 v[41:42], v50 offset0:8 offset1:98
	v_add_co_u32_e64 v33, s[0:1], s8, v33
	v_addc_co_u32_e64 v34, s[0:1], v35, v34, s[0:1]
	global_load_dwordx4 v[106:109], v[33:34], off offset:2376
	ds_read2_b32 v[33:34], v51 offset0:132 offset1:222
	ds_read2_b32 v[71:72], v53 offset0:56 offset1:146
	v_cmp_lt_u32_e64 s[0:1], 29, v63
	s_waitcnt vmcnt(5)
	v_mul_f32_e32 v6, v28, v38
	s_waitcnt lgkmcnt(1)
	v_fma_f32 v87, v33, v37, -v6
	v_lshrrev_b16_e32 v6, 2, v67
	v_mul_f32_e32 v86, v33, v38
	v_mul_u32_u24_e32 v6, 0x6d3b, v6
	v_fmac_f32_e32 v86, v28, v37
	v_lshrrev_b32_e32 v28, 21, v6
	v_mul_lo_u16_e32 v6, 0x12c, v28
	v_sub_u16_e32 v33, v67, v6
	v_lshlrev_b32_e32 v6, 4, v33
	global_load_dwordx4 v[110:113], v6, s[8:9] offset:2376
	v_lshrrev_b16_e32 v6, 2, v68
	v_mul_u32_u24_e32 v6, 0x6d3b, v6
	v_lshrrev_b32_e32 v6, 21, v6
	v_mul_lo_u16_e32 v6, 0x12c, v6
	v_sub_u16_e32 v35, v68, v6
	v_lshlrev_b32_e32 v6, 4, v35
	global_load_dwordx4 v[114:117], v6, s[8:9] offset:2376
	v_mul_f32_e32 v6, v26, v40
	v_fma_f32 v122, v41, v39, -v6
	v_lshrrev_b16_e32 v6, 2, v69
	v_mul_u32_u24_e32 v6, 0x6d3b, v6
	v_lshrrev_b32_e32 v6, 21, v6
	v_mul_f32_e32 v88, v41, v40
	v_mul_lo_u16_e32 v6, 0x12c, v6
	v_fmac_f32_e32 v88, v26, v39
	v_sub_u16_e32 v26, v69, v6
	s_waitcnt vmcnt(6)
	v_mul_f32_e32 v123, v34, v79
	v_lshlrev_b32_e32 v6, 4, v26
	v_fmac_f32_e32 v123, v29, v78
	global_load_dwordx4 v[38:41], v6, s[8:9] offset:2376
	v_mul_f32_e32 v6, v29, v79
	v_lshrrev_b16_e32 v29, 2, v70
	v_mul_u32_u24_e32 v29, 0x6d3b, v29
	v_lshrrev_b32_e32 v29, 21, v29
	v_mul_lo_u16_e32 v29, 0x12c, v29
	v_sub_u16_e32 v37, v70, v29
	v_lshlrev_b32_e32 v29, 4, v37
	global_load_dwordx4 v[118:121], v29, s[8:9] offset:2376
	v_fma_f32 v124, v34, v78, -v6
	ds_read2_b32 v[78:79], v54 offset0:60 offset1:150
	v_mul_f32_e32 v125, v42, v81
	v_mul_f32_e32 v6, v27, v81
	v_fmac_f32_e32 v125, v27, v80
	v_fma_f32 v27, v42, v80, -v6
	ds_read2_b32 v[42:43], v46 offset0:108 offset1:198
	s_waitcnt vmcnt(7) lgkmcnt(2)
	v_mul_f32_e32 v126, v71, v83
	v_mul_f32_e32 v6, v24, v83
	ds_read2_b32 v[80:81], v47 offset0:112 offset1:202
	v_fmac_f32_e32 v126, v24, v82
	v_fma_f32 v71, v71, v82, -v6
	v_mul_f32_e32 v6, v20, v85
	ds_read2_b32 v[82:83], v57 offset0:160 offset1:250
	s_waitcnt lgkmcnt(3)
	v_mul_f32_e32 v127, v78, v85
	v_fma_f32 v78, v78, v84, -v6
	s_waitcnt vmcnt(6)
	v_mul_f32_e32 v128, v72, v99
	v_mul_f32_e32 v6, v25, v99
	v_fmac_f32_e32 v127, v20, v84
	v_fmac_f32_e32 v128, v25, v98
	v_fma_f32 v98, v72, v98, -v6
	v_mul_f32_e32 v6, v21, v101
	ds_read2_b32 v[84:85], v56 offset0:36 offset1:126
	v_mul_f32_e32 v99, v79, v101
	v_fma_f32 v79, v79, v100, -v6
	s_waitcnt vmcnt(5) lgkmcnt(3)
	v_mul_f32_e32 v129, v42, v103
	v_mul_f32_e32 v6, v22, v103
	v_fmac_f32_e32 v129, v22, v102
	v_fma_f32 v102, v42, v102, -v6
	s_waitcnt lgkmcnt(2)
	v_mul_f32_e32 v130, v80, v105
	v_mul_f32_e32 v6, v18, v105
	v_fmac_f32_e32 v130, v18, v104
	v_fma_f32 v104, v80, v104, -v6
	s_waitcnt vmcnt(4)
	v_mul_f32_e32 v105, v43, v107
	v_mul_f32_e32 v6, v23, v107
	v_mul_f32_e32 v107, v81, v109
	v_mul_f32_e32 v18, v19, v109
	v_fmac_f32_e32 v99, v21, v100
	v_fmac_f32_e32 v105, v23, v106
	v_fma_f32 v106, v43, v106, -v6
	ds_read_b32 v34, v49
	ds_read_b32 v29, v52
	;; [unrolled: 1-line block ×7, first 2 shown]
	ds_read2_b32 v[22:23], v60 offset0:84 offset1:174
	ds_read2_b32 v[42:43], v73 offset0:88 offset1:178
	v_add_f32_e32 v80, v126, v127
	v_fmac_f32_e32 v107, v19, v108
	v_fma_f32 v108, v81, v108, -v18
	ds_read_b32 v72, v75
	ds_read_b32 v19, v76
	;; [unrolled: 1-line block ×3, first 2 shown]
	s_waitcnt vmcnt(0) lgkmcnt(0)
	s_barrier
	v_mul_f32_e32 v109, v82, v111
	v_fmac_f32_e32 v109, v12, v110
	v_mul_f32_e32 v12, v12, v111
	v_fma_f32 v12, v82, v110, -v12
	v_mul_f32_e32 v82, v84, v113
	v_fmac_f32_e32 v82, v10, v112
	v_mul_f32_e32 v10, v10, v113
	v_fma_f32 v10, v84, v112, -v10
	v_mul_f32_e32 v84, v83, v115
	v_fmac_f32_e32 v84, v13, v114
	v_mul_f32_e32 v13, v13, v115
	v_fma_f32 v13, v83, v114, -v13
	v_mul_f32_e32 v83, v85, v117
	v_fmac_f32_e32 v83, v11, v116
	v_mul_f32_e32 v11, v11, v117
	v_fma_f32 v11, v85, v116, -v11
	v_mul_f32_e32 v85, v22, v39
	v_fmac_f32_e32 v85, v16, v38
	v_mul_f32_e32 v16, v16, v39
	v_fma_f32 v22, v22, v38, -v16
	v_mul_f32_e32 v38, v42, v41
	v_fmac_f32_e32 v38, v14, v40
	v_mul_f32_e32 v14, v14, v41
	v_fma_f32 v39, v42, v40, -v14
	v_mul_f32_e32 v14, v17, v119
	v_mul_f32_e32 v40, v23, v119
	v_fma_f32 v23, v23, v118, -v14
	v_mul_f32_e32 v14, v15, v121
	v_fma_f32 v42, v43, v120, -v14
	v_add_f32_e32 v14, v97, v86
	v_mul_f32_e32 v41, v43, v121
	v_add_f32_e32 v43, v14, v88
	v_add_f32_e32 v14, v86, v88
	v_fmac_f32_e32 v97, -0.5, v14
	v_fmac_f32_e32 v41, v15, v120
	v_sub_f32_e32 v14, v87, v122
	v_mov_b32_e32 v110, v97
	v_add_f32_e32 v15, v87, v122
	v_fmac_f32_e32 v110, 0xbf5db3d7, v14
	v_fmac_f32_e32 v97, 0x3f5db3d7, v14
	v_add_f32_e32 v14, v34, v87
	v_fmac_f32_e32 v34, -0.5, v15
	v_sub_f32_e32 v16, v86, v88
	v_mov_b32_e32 v15, v34
	v_fmac_f32_e32 v15, 0x3f5db3d7, v16
	v_fmac_f32_e32 v34, 0xbf5db3d7, v16
	v_add_f32_e32 v16, v96, v123
	v_add_f32_e32 v111, v16, v125
	;; [unrolled: 1-line block ×3, first 2 shown]
	v_fmac_f32_e32 v96, -0.5, v16
	v_fmac_f32_e32 v40, v17, v118
	v_sub_f32_e32 v16, v124, v27
	v_mov_b32_e32 v112, v96
	v_add_f32_e32 v17, v124, v27
	v_fmac_f32_e32 v112, 0xbf5db3d7, v16
	v_fmac_f32_e32 v96, 0x3f5db3d7, v16
	v_add_f32_e32 v16, v29, v124
	v_fmac_f32_e32 v29, -0.5, v17
	v_add_f32_e32 v16, v16, v27
	v_sub_f32_e32 v27, v123, v125
	v_mov_b32_e32 v17, v29
	v_fmac_f32_e32 v17, 0x3f5db3d7, v27
	v_fmac_f32_e32 v29, 0xbf5db3d7, v27
	v_add_f32_e32 v27, v95, v126
	v_fmac_f32_e32 v95, -0.5, v80
	v_sub_f32_e32 v80, v71, v78
	v_mov_b32_e32 v113, v95
	v_fmac_f32_e32 v113, 0xbf5db3d7, v80
	v_fmac_f32_e32 v95, 0x3f5db3d7, v80
	v_add_f32_e32 v80, v25, v71
	v_add_f32_e32 v71, v71, v78
	v_fmac_f32_e32 v25, -0.5, v71
	v_add_f32_e32 v80, v80, v78
	v_sub_f32_e32 v71, v126, v127
	v_mov_b32_e32 v81, v25
	v_add_f32_e32 v78, v128, v99
	v_fmac_f32_e32 v81, 0x3f5db3d7, v71
	v_fmac_f32_e32 v25, 0xbf5db3d7, v71
	v_add_f32_e32 v71, v94, v128
	v_fmac_f32_e32 v94, -0.5, v78
	v_sub_f32_e32 v78, v98, v79
	v_mov_b32_e32 v114, v94
	v_fmac_f32_e32 v114, 0xbf5db3d7, v78
	v_fmac_f32_e32 v94, 0x3f5db3d7, v78
	v_add_f32_e32 v78, v72, v98
	v_add_f32_e32 v100, v78, v79
	v_add_f32_e32 v78, v98, v79
	v_fmac_f32_e32 v72, -0.5, v78
	v_sub_f32_e32 v78, v128, v99
	v_mov_b32_e32 v101, v72
	v_add_f32_e32 v79, v129, v130
	v_fmac_f32_e32 v101, 0x3f5db3d7, v78
	v_fmac_f32_e32 v72, 0xbf5db3d7, v78
	v_add_f32_e32 v78, v92, v129
	v_fmac_f32_e32 v92, -0.5, v79
	v_sub_f32_e32 v79, v102, v104
	v_mov_b32_e32 v115, v92
	v_fmac_f32_e32 v115, 0xbf5db3d7, v79
	v_fmac_f32_e32 v92, 0x3f5db3d7, v79
	v_add_f32_e32 v79, v21, v102
	v_add_f32_e32 v103, v79, v104
	v_add_f32_e32 v79, v102, v104
	v_fmac_f32_e32 v21, -0.5, v79
	;; [unrolled: 15-line block ×3, first 2 shown]
	v_sub_f32_e32 v86, v105, v107
	v_mov_b32_e32 v102, v24
	v_fmac_f32_e32 v102, 0x3f5db3d7, v86
	v_fmac_f32_e32 v24, 0xbf5db3d7, v86
	v_add_f32_e32 v86, v91, v109
	v_add_f32_e32 v105, v86, v82
	;; [unrolled: 1-line block ×3, first 2 shown]
	v_fmac_f32_e32 v91, -0.5, v86
	v_sub_f32_e32 v86, v12, v10
	v_mov_b32_e32 v106, v91
	v_fmac_f32_e32 v106, 0xbf5db3d7, v86
	v_fmac_f32_e32 v91, 0x3f5db3d7, v86
	v_add_f32_e32 v86, v19, v12
	v_add_f32_e32 v98, v86, v10
	;; [unrolled: 1-line block ×3, first 2 shown]
	v_fmac_f32_e32 v19, -0.5, v10
	v_add_f32_e32 v71, v71, v99
	v_sub_f32_e32 v10, v109, v82
	v_mov_b32_e32 v99, v19
	v_add_f32_e32 v12, v84, v83
	v_fmac_f32_e32 v99, 0x3f5db3d7, v10
	v_fmac_f32_e32 v19, 0xbf5db3d7, v10
	v_add_f32_e32 v10, v31, v84
	v_fmac_f32_e32 v31, -0.5, v12
	v_add_f32_e32 v79, v79, v107
	v_sub_f32_e32 v12, v13, v11
	v_mov_b32_e32 v107, v31
	v_fmac_f32_e32 v107, 0xbf5db3d7, v12
	v_fmac_f32_e32 v31, 0x3f5db3d7, v12
	v_add_f32_e32 v12, v20, v13
	v_add_f32_e32 v82, v12, v11
	;; [unrolled: 1-line block ×3, first 2 shown]
	v_fmac_f32_e32 v20, -0.5, v11
	v_add_f32_e32 v10, v10, v83
	v_sub_f32_e32 v11, v84, v83
	v_mov_b32_e32 v83, v20
	v_add_f32_e32 v12, v85, v38
	v_fmac_f32_e32 v83, 0x3f5db3d7, v11
	v_fmac_f32_e32 v20, 0xbf5db3d7, v11
	v_add_f32_e32 v11, v30, v85
	v_fmac_f32_e32 v30, -0.5, v12
	v_sub_f32_e32 v12, v22, v39
	v_mov_b32_e32 v13, v30
	v_fmac_f32_e32 v13, 0xbf5db3d7, v12
	v_fmac_f32_e32 v30, 0x3f5db3d7, v12
	v_add_f32_e32 v12, v6, v22
	v_add_f32_e32 v84, v12, v39
	;; [unrolled: 1-line block ×3, first 2 shown]
	v_fmac_f32_e32 v6, -0.5, v12
	v_sub_f32_e32 v12, v85, v38
	v_mov_b32_e32 v85, v6
	v_add_f32_e32 v22, v40, v41
	v_fmac_f32_e32 v85, 0x3f5db3d7, v12
	v_fmac_f32_e32 v6, 0xbf5db3d7, v12
	v_add_f32_e32 v12, v32, v40
	v_fmac_f32_e32 v32, -0.5, v22
	v_add_f32_e32 v11, v11, v38
	v_sub_f32_e32 v22, v23, v42
	v_mov_b32_e32 v38, v32
	v_fmac_f32_e32 v38, 0xbf5db3d7, v22
	v_fmac_f32_e32 v32, 0x3f5db3d7, v22
	v_add_f32_e32 v22, v18, v23
	v_add_f32_e32 v86, v22, v42
	;; [unrolled: 1-line block ×3, first 2 shown]
	v_fmac_f32_e32 v18, -0.5, v22
	v_sub_f32_e32 v22, v40, v41
	v_mov_b32_e32 v87, v18
	v_fmac_f32_e32 v87, 0x3f5db3d7, v22
	v_fmac_f32_e32 v18, 0xbf5db3d7, v22
	v_mov_b32_e32 v22, 0xe10
	v_cndmask_b32_e64 v22, 0, v22, s[0:1]
	v_lshlrev_b32_e32 v23, 2, v36
	v_add_f32_e32 v27, v27, v127
	ds_write_b32 v49, v43
	ds_write_b32 v49, v110 offset:1200
	ds_write_b32 v49, v97 offset:2400
	ds_write_b32 v52, v111
	ds_write_b32 v52, v112 offset:1200
	ds_write_b32 v52, v96 offset:2400
	;; [unrolled: 3-line block ×3, first 2 shown]
	v_add3_u32 v95, 0, v22, v23
	v_mul_u32_u24_e32 v22, 0xe10, v28
	v_lshlrev_b32_e32 v23, 2, v33
	v_add_f32_e32 v78, v78, v130
	ds_write_b32 v95, v71
	ds_write_b32 v95, v114 offset:1200
	ds_write_b32 v95, v94 offset:2400
	v_add_u32_e32 v94, 0xe00, v49
	v_add3_u32 v96, 0, v22, v23
	v_add_f32_e32 v12, v12, v41
	ds_write2_b32 v94, v78, v79 offset0:64 offset1:154
	ds_write2_b32 v46, v115, v116 offset0:108 offset1:198
	;; [unrolled: 1-line block ×3, first 2 shown]
	ds_write_b32 v96, v105
	ds_write_b32 v96, v106 offset:1200
	ds_write_b32 v96, v91 offset:2400
	v_lshl_add_u32 v97, v35, 2, 0
	v_lshl_add_u32 v105, v26, 2, 0
	v_lshl_add_u32 v106, v37, 2, 0
	ds_write_b32 v97, v10 offset:7200
	ds_write_b32 v97, v107 offset:8400
	;; [unrolled: 1-line block ×9, first 2 shown]
	s_waitcnt lgkmcnt(0)
	s_barrier
	ds_read2_b32 v[26:27], v51 offset0:132 offset1:222
	ds_read2_b32 v[22:23], v50 offset0:8 offset1:98
	;; [unrolled: 1-line block ×8, first 2 shown]
	ds_read_b32 v71, v49
	ds_read_b32 v78, v52
	;; [unrolled: 1-line block ×8, first 2 shown]
	ds_read2_b32 v[10:11], v60 offset0:84 offset1:174
	ds_read2_b32 v[12:13], v73 offset0:88 offset1:178
	ds_read_b32 v76, v76
	ds_read_b32 v35, v74
	v_add_f32_e32 v14, v14, v122
	s_waitcnt lgkmcnt(0)
	s_barrier
	ds_write_b32 v49, v14
	ds_write_b32 v49, v15 offset:1200
	ds_write_b32 v49, v34 offset:2400
	ds_write_b32 v52, v16
	ds_write_b32 v52, v17 offset:1200
	ds_write_b32 v52, v29 offset:2400
	;; [unrolled: 3-line block ×4, first 2 shown]
	ds_write2_b32 v94, v103, v104 offset0:64 offset1:154
	ds_write2_b32 v46, v88, v102 offset0:108 offset1:198
	;; [unrolled: 1-line block ×3, first 2 shown]
	ds_write_b32 v96, v98
	ds_write_b32 v96, v99 offset:1200
	ds_write_b32 v96, v19 offset:2400
	;; [unrolled: 1-line block ×11, first 2 shown]
	s_waitcnt lgkmcnt(0)
	s_barrier
	s_and_saveexec_b64 s[0:1], vcc
	s_cbranch_execz .LBB0_15
; %bb.14:
	v_lshlrev_b32_e32 v6, 1, v70
	v_lshlrev_b64 v[14:15], 3, v[6:7]
	v_mov_b32_e32 v70, s9
	v_add_co_u32_e32 v6, vcc, s8, v14
	v_addc_co_u32_e32 v15, vcc, v70, v15, vcc
	v_add_co_u32_e32 v14, vcc, 0x1000, v6
	v_lshlrev_b32_e32 v6, 1, v69
	v_lshlrev_b64 v[18:19], 3, v[6:7]
	v_addc_co_u32_e32 v15, vcc, 0, v15, vcc
	v_add_co_u32_e32 v6, vcc, s8, v18
	v_addc_co_u32_e32 v19, vcc, v70, v19, vcc
	v_add_co_u32_e32 v18, vcc, s4, v6
	global_load_dwordx4 v[14:17], v[14:15], off offset:3080
	v_addc_co_u32_e32 v19, vcc, 0, v19, vcc
	global_load_dwordx4 v[18:21], v[18:19], off offset:3080
	v_lshlrev_b32_e32 v6, 1, v68
	v_lshlrev_b64 v[24:25], 3, v[6:7]
	v_sub_u32_e32 v74, 0, v61
	v_add_co_u32_e32 v6, vcc, s8, v24
	v_addc_co_u32_e32 v25, vcc, v70, v25, vcc
	v_add_co_u32_e32 v24, vcc, s4, v6
	v_addc_co_u32_e32 v25, vcc, 0, v25, vcc
	global_load_dwordx4 v[80:83], v[24:25], off offset:3080
	v_sub_u32_e32 v6, 0, v59
	v_add_u32_e32 v6, v58, v6
	ds_read2_b32 v[24:25], v60 offset0:84 offset1:174
	ds_read2_b32 v[68:69], v73 offset0:88 offset1:178
	ds_read_b32 v29, v6
	ds_read_b32 v34, v90
	;; [unrolled: 1-line block ×3, first 2 shown]
	v_lshlrev_b32_e32 v6, 1, v67
	v_lshlrev_b64 v[58:59], 3, v[6:7]
	v_sub_u32_e32 v62, 0, v62
	v_add_co_u32_e32 v6, vcc, s8, v58
	v_addc_co_u32_e32 v59, vcc, v70, v59, vcc
	v_add_co_u32_e32 v58, vcc, s4, v6
	v_addc_co_u32_e32 v59, vcc, 0, v59, vcc
	global_load_dwordx4 v[58:61], v[58:59], off offset:3080
	v_add_u32_e32 v48, v48, v74
	s_waitcnt vmcnt(3)
	v_mul_f32_e32 v6, v11, v15
	v_mul_f32_e32 v67, v13, v17
	s_waitcnt lgkmcnt(4)
	v_mul_f32_e32 v15, v25, v15
	s_waitcnt lgkmcnt(3)
	v_mul_f32_e32 v17, v69, v17
	s_waitcnt vmcnt(2)
	v_mul_f32_e32 v72, v10, v19
	v_mul_f32_e32 v73, v12, v21
	;; [unrolled: 1-line block ×3, first 2 shown]
	v_fmac_f32_e32 v15, v11, v14
	v_fmac_f32_e32 v17, v13, v16
	v_mul_f32_e32 v85, v24, v19
	v_fma_f32 v6, v14, v25, -v6
	v_fma_f32 v19, v16, v69, -v67
	;; [unrolled: 1-line block ×4, first 2 shown]
	v_fmac_f32_e32 v86, v12, v20
	v_add_f32_e32 v12, v15, v17
	v_fmac_f32_e32 v85, v10, v18
	v_add_f32_e32 v10, v6, v19
	s_waitcnt lgkmcnt(2)
	v_add_f32_e32 v11, v29, v6
	v_add_f32_e32 v20, v16, v24
	v_fma_f32 v12, -0.5, v12, v35
	v_sub_f32_e32 v18, v15, v17
	v_sub_f32_e32 v6, v6, v19
	v_add_f32_e32 v14, v35, v15
	v_fma_f32 v13, -0.5, v10, v29
	v_add_f32_e32 v15, v11, v19
	s_waitcnt lgkmcnt(1)
	v_fma_f32 v19, -0.5, v20, v34
	v_mov_b32_e32 v10, v12
	v_sub_f32_e32 v21, v85, v86
	v_add_f32_e32 v14, v14, v17
	v_fmac_f32_e32 v12, 0xbf5db3d7, v6
	v_mov_b32_e32 v17, v19
	v_fmac_f32_e32 v10, 0x3f5db3d7, v6
	v_add_f32_e32 v6, v34, v16
	v_mov_b32_e32 v11, v13
	v_fmac_f32_e32 v17, 0xbf5db3d7, v21
	v_fmac_f32_e32 v19, 0x3f5db3d7, v21
	v_add_f32_e32 v21, v6, v24
	v_add_f32_e32 v6, v85, v86
	v_fmac_f32_e32 v13, 0x3f5db3d7, v18
	v_fmac_f32_e32 v11, 0xbf5db3d7, v18
	v_fma_f32 v18, -0.5, v6, v28
	v_sub_f32_e32 v6, v16, v24
	v_mov_b32_e32 v16, v18
	v_fmac_f32_e32 v16, 0x3f5db3d7, v6
	v_fmac_f32_e32 v18, 0xbf5db3d7, v6
	v_lshlrev_b32_e32 v6, 1, v66
	v_lshlrev_b64 v[24:25], 3, v[6:7]
	ds_read2_b32 v[72:73], v57 offset0:160 offset1:250
	v_add_co_u32_e32 v6, vcc, s8, v24
	v_addc_co_u32_e32 v20, vcc, v70, v25, vcc
	v_add_co_u32_e32 v24, vcc, s4, v6
	v_addc_co_u32_e32 v25, vcc, 0, v20, vcc
	global_load_dwordx4 v[66:69], v[24:25], off offset:3080
	ds_read2_b32 v[56:57], v56 offset0:36 offset1:126
	v_add_f32_e32 v6, v28, v85
	v_add_f32_e32 v20, v6, v86
	s_waitcnt vmcnt(2)
	v_mul_f32_e32 v6, v39, v81
	s_waitcnt lgkmcnt(1)
	v_fma_f32 v24, v80, v73, -v6
	v_mul_f32_e32 v6, v37, v83
	s_waitcnt lgkmcnt(0)
	v_fma_f32 v85, v82, v57, -v6
	ds_read_b32 v86, v44
	v_mul_f32_e32 v44, v73, v81
	v_add_f32_e32 v6, v24, v85
	v_fmac_f32_e32 v44, v39, v80
	v_mul_f32_e32 v39, v57, v83
	v_fma_f32 v29, -0.5, v6, v84
	v_fmac_f32_e32 v39, v37, v82
	v_sub_f32_e32 v6, v44, v39
	v_mov_b32_e32 v25, v29
	v_fmac_f32_e32 v25, 0xbf5db3d7, v6
	v_fmac_f32_e32 v29, 0x3f5db3d7, v6
	v_lshlrev_b32_e32 v6, 1, v65
	v_lshlrev_b64 v[34:35], 3, v[6:7]
	s_waitcnt vmcnt(1)
	v_mul_f32_e32 v37, v38, v59
	v_add_co_u32_e32 v6, vcc, s8, v34
	v_addc_co_u32_e32 v28, vcc, v70, v35, vcc
	v_add_co_u32_e32 v34, vcc, s4, v6
	v_addc_co_u32_e32 v35, vcc, 0, v28, vcc
	global_load_dwordx4 v[80:83], v[34:35], off offset:3080
	v_add_f32_e32 v6, v84, v24
	v_add_f32_e32 v35, v6, v85
	;; [unrolled: 1-line block ×3, first 2 shown]
	v_fma_f32 v28, -0.5, v6, v93
	v_sub_f32_e32 v6, v24, v85
	v_mov_b32_e32 v24, v28
	v_fmac_f32_e32 v24, 0x3f5db3d7, v6
	v_fmac_f32_e32 v28, 0xbf5db3d7, v6
	v_add_f32_e32 v6, v93, v44
	v_add_f32_e32 v34, v6, v39
	v_add_u32_e32 v6, v45, v62
	ds_read_b32 v6, v6
	v_fma_f32 v44, v58, v72, -v37
	v_mul_f32_e32 v37, v36, v61
	v_fma_f32 v62, v60, v56, -v37
	v_add_f32_e32 v37, v44, v62
	s_waitcnt lgkmcnt(0)
	v_fma_f32 v39, -0.5, v37, v6
	v_add_f32_e32 v6, v6, v44
	v_add_f32_e32 v45, v6, v62
	v_lshlrev_b32_e32 v6, 1, v64
	v_lshlrev_b64 v[6:7], 3, v[6:7]
	v_mul_f32_e32 v65, v72, v59
	v_add_co_u32_e32 v6, vcc, s8, v6
	v_addc_co_u32_e32 v7, vcc, v70, v7, vcc
	v_add_co_u32_e32 v6, vcc, s4, v6
	v_addc_co_u32_e32 v7, vcc, 0, v7, vcc
	v_fmac_f32_e32 v65, v38, v58
	v_mul_f32_e32 v84, v56, v61
	global_load_dwordx4 v[56:59], v[6:7], off offset:3080
	v_fmac_f32_e32 v84, v36, v60
	v_add_f32_e32 v6, v65, v84
	ds_read2_b32 v[60:61], v46 offset0:108 offset1:198
	v_sub_f32_e32 v36, v65, v84
	v_mov_b32_e32 v37, v39
	v_fma_f32 v38, -0.5, v6, v76
	v_fmac_f32_e32 v37, 0xbf5db3d7, v36
	v_fmac_f32_e32 v39, 0x3f5db3d7, v36
	v_sub_f32_e32 v6, v44, v62
	v_mov_b32_e32 v36, v38
	v_fmac_f32_e32 v36, 0x3f5db3d7, v6
	v_fmac_f32_e32 v38, 0xbf5db3d7, v6
	v_add_f32_e32 v6, v76, v65
	v_add_f32_e32 v44, v6, v84
	v_add_co_u32_e32 v8, vcc, s4, v8
	s_waitcnt vmcnt(2)
	v_mul_f32_e32 v6, v43, v67
	s_waitcnt lgkmcnt(0)
	v_fma_f32 v46, v66, v61, -v6
	v_mul_f32_e32 v61, v61, v67
	v_addc_co_u32_e32 v9, vcc, 0, v9, vcc
	ds_read2_b32 v[72:73], v47 offset0:112 offset1:202
	v_fmac_f32_e32 v61, v43, v66
	global_load_dwordx4 v[64:67], v[8:9], off offset:3080
	v_mul_f32_e32 v6, v41, v69
	v_add_co_u32_e32 v4, vcc, s4, v4
	s_waitcnt lgkmcnt(0)
	v_fma_f32 v62, v68, v73, -v6
	v_add_f32_e32 v6, v46, v62
	v_mul_f32_e32 v43, v73, v69
	v_fma_f32 v7, -0.5, v6, v86
	v_fmac_f32_e32 v43, v41, v68
	v_sub_f32_e32 v6, v61, v43
	v_mov_b32_e32 v9, v7
	v_fmac_f32_e32 v9, 0xbf5db3d7, v6
	v_fmac_f32_e32 v7, 0x3f5db3d7, v6
	v_add_f32_e32 v6, v86, v46
	v_add_f32_e32 v47, v6, v62
	;; [unrolled: 1-line block ×3, first 2 shown]
	v_addc_co_u32_e32 v5, vcc, 0, v5, vcc
	v_fma_f32 v6, -0.5, v6, v92
	global_load_dwordx4 v[84:87], v[4:5], off offset:3080
	v_sub_f32_e32 v41, v46, v62
	v_mov_b32_e32 v8, v6
	ds_read_b32 v70, v77
	ds_read_b32 v73, v55
	v_fmac_f32_e32 v8, 0x3f5db3d7, v41
	v_fmac_f32_e32 v6, 0xbf5db3d7, v41
	v_add_f32_e32 v41, v92, v61
	v_add_f32_e32 v46, v41, v43
	s_waitcnt vmcnt(3)
	v_mul_f32_e32 v41, v42, v81
	v_fma_f32 v62, v80, v60, -v41
	v_mul_f32_e32 v41, v40, v83
	v_fma_f32 v68, v82, v72, -v41
	v_add_f32_e32 v41, v62, v68
	v_mul_f32_e32 v4, v60, v81
	v_mul_f32_e32 v5, v72, v83
	s_waitcnt lgkmcnt(1)
	v_fma_f32 v41, -0.5, v41, v70
	v_fmac_f32_e32 v4, v42, v80
	v_fmac_f32_e32 v5, v40, v82
	v_sub_f32_e32 v40, v4, v5
	v_mov_b32_e32 v43, v41
	v_fmac_f32_e32 v43, 0xbf5db3d7, v40
	v_fmac_f32_e32 v41, 0x3f5db3d7, v40
	v_add_f32_e32 v40, v70, v62
	v_add_co_u32_e32 v2, vcc, s4, v2
	v_add_f32_e32 v61, v40, v68
	v_add_f32_e32 v40, v4, v5
	;; [unrolled: 1-line block ×3, first 2 shown]
	v_addc_co_u32_e32 v3, vcc, 0, v3, vcc
	v_add_f32_e32 v60, v4, v5
	global_load_dwordx4 v[2:5], v[2:3], off offset:3080
	v_sub_f32_e32 v55, v62, v68
	ds_read2_b32 v[68:69], v53 offset0:56 offset1:146
	v_fma_f32 v40, -0.5, v40, v91
	ds_read2_b32 v[53:54], v54 offset0:60 offset1:150
	ds_read_b32 v48, v48
	v_mov_b32_e32 v42, v40
	v_fmac_f32_e32 v42, 0x3f5db3d7, v55
	v_fmac_f32_e32 v40, 0xbf5db3d7, v55
	s_waitcnt vmcnt(3)
	v_mul_f32_e32 v55, v33, v57
	s_waitcnt lgkmcnt(2)
	v_fma_f32 v62, v56, v69, -v55
	v_mul_f32_e32 v55, v31, v59
	s_waitcnt lgkmcnt(1)
	v_fma_f32 v70, v58, v54, -v55
	v_mul_f32_e32 v69, v69, v57
	v_add_f32_e32 v55, v62, v70
	v_fmac_f32_e32 v69, v33, v56
	v_mul_f32_e32 v33, v54, v59
	s_waitcnt lgkmcnt(0)
	v_fma_f32 v55, -0.5, v55, v48
	v_fmac_f32_e32 v33, v31, v58
	v_sub_f32_e32 v31, v69, v33
	v_mov_b32_e32 v57, v55
	v_fmac_f32_e32 v57, 0xbf5db3d7, v31
	v_fmac_f32_e32 v55, 0x3f5db3d7, v31
	v_add_f32_e32 v31, v48, v62
	v_add_f32_e32 v59, v31, v70
	;; [unrolled: 1-line block ×3, first 2 shown]
	v_fma_f32 v54, -0.5, v31, v75
	v_sub_f32_e32 v31, v62, v70
	v_mov_b32_e32 v56, v54
	v_fmac_f32_e32 v56, 0x3f5db3d7, v31
	v_fmac_f32_e32 v54, 0xbf5db3d7, v31
	v_add_f32_e32 v31, v75, v69
	v_add_f32_e32 v58, v31, v33
	s_waitcnt vmcnt(2)
	v_mul_f32_e32 v31, v32, v65
	v_fma_f32 v48, v64, v68, -v31
	v_mul_f32_e32 v31, v30, v67
	v_fma_f32 v62, v66, v53, -v31
	v_add_f32_e32 v31, v48, v62
	v_mul_f32_e32 v68, v68, v65
	v_mul_f32_e32 v53, v53, v67
	v_fma_f32 v31, -0.5, v31, v73
	v_fmac_f32_e32 v68, v32, v64
	v_fmac_f32_e32 v53, v30, v66
	v_sub_f32_e32 v30, v68, v53
	v_mov_b32_e32 v33, v31
	v_fmac_f32_e32 v33, 0xbf5db3d7, v30
	v_fmac_f32_e32 v31, 0x3f5db3d7, v30
	v_add_f32_e32 v30, v73, v48
	ds_read_b32 v69, v52
	v_add_f32_e32 v52, v30, v62
	v_add_f32_e32 v30, v68, v53
	ds_read2_b32 v[64:65], v51 offset0:132 offset1:222
	v_fma_f32 v30, -0.5, v30, v79
	ds_read2_b32 v[66:67], v50 offset0:8 offset1:98
	v_sub_f32_e32 v48, v48, v62
	v_mov_b32_e32 v32, v30
	v_fmac_f32_e32 v32, 0x3f5db3d7, v48
	v_fmac_f32_e32 v30, 0xbf5db3d7, v48
	v_add_f32_e32 v48, v79, v68
	v_add_f32_e32 v51, v48, v53
	s_waitcnt vmcnt(1)
	v_mul_f32_e32 v48, v27, v85
	s_waitcnt lgkmcnt(1)
	v_fma_f32 v50, v84, v65, -v48
	v_mul_f32_e32 v48, v23, v87
	s_waitcnt lgkmcnt(0)
	v_fma_f32 v53, v86, v67, -v48
	v_mul_f32_e32 v65, v65, v85
	v_add_f32_e32 v48, v50, v53
	v_fmac_f32_e32 v65, v27, v84
	v_mul_f32_e32 v27, v67, v87
	ds_read_b32 v62, v49
	v_fma_f32 v49, -0.5, v48, v69
	v_fmac_f32_e32 v27, v23, v86
	v_sub_f32_e32 v23, v65, v27
	v_mov_b32_e32 v68, v49
	v_fmac_f32_e32 v68, 0xbf5db3d7, v23
	v_fmac_f32_e32 v49, 0x3f5db3d7, v23
	v_add_f32_e32 v23, v69, v50
	v_add_f32_e32 v70, v23, v53
	v_add_f32_e32 v23, v65, v27
	v_fma_f32 v48, -0.5, v23, v78
	v_sub_f32_e32 v23, v50, v53
	v_mov_b32_e32 v67, v48
	v_fmac_f32_e32 v67, 0x3f5db3d7, v23
	v_fmac_f32_e32 v48, 0xbf5db3d7, v23
	v_add_f32_e32 v23, v78, v65
	v_add_f32_e32 v69, v23, v27
	s_waitcnt vmcnt(0)
	v_mul_f32_e32 v23, v26, v3
	v_fma_f32 v50, v2, v64, -v23
	v_mul_f32_e32 v23, v22, v5
	v_fma_f32 v53, v4, v66, -v23
	v_mul_f32_e32 v72, v64, v3
	v_add_f32_e32 v23, v50, v53
	v_fmac_f32_e32 v72, v26, v2
	v_mul_f32_e32 v66, v66, v5
	v_mad_u64_u32 v[26:27], s[0:1], s2, v63, 0
	s_waitcnt lgkmcnt(0)
	v_fma_f32 v23, -0.5, v23, v62
	v_fmac_f32_e32 v66, v22, v4
	v_sub_f32_e32 v2, v72, v66
	v_mov_b32_e32 v3, v23
	v_fmac_f32_e32 v3, 0xbf5db3d7, v2
	v_fmac_f32_e32 v23, 0x3f5db3d7, v2
	v_add_f32_e32 v2, v62, v50
	v_add_f32_e32 v5, v2, v53
	v_mov_b32_e32 v4, v27
	v_mad_u64_u32 v[64:65], s[0:1], s3, v63, v[4:5]
	v_sub_f32_e32 v50, v50, v53
	v_add_u32_e32 v53, 0x384, v63
	v_add_f32_e32 v2, v72, v66
	v_mov_b32_e32 v27, v64
	v_mad_u64_u32 v[64:65], s[0:1], s2, v53, 0
	v_fma_f32 v22, -0.5, v2, v71
	v_mov_b32_e32 v2, v22
	v_fmac_f32_e32 v2, 0x3f5db3d7, v50
	v_fmac_f32_e32 v22, 0xbf5db3d7, v50
	v_mov_b32_e32 v50, s13
	v_add_co_u32_e32 v0, vcc, s12, v0
	v_add_f32_e32 v4, v71, v72
	v_addc_co_u32_e32 v1, vcc, v50, v1, vcc
	v_mov_b32_e32 v50, v65
	v_add_f32_e32 v4, v4, v66
	v_lshlrev_b64 v[26:27], 3, v[26:27]
	v_mad_u64_u32 v[65:66], s[0:1], s3, v53, v[50:51]
	v_add_co_u32_e32 v26, vcc, v0, v26
	v_addc_co_u32_e32 v27, vcc, v1, v27, vcc
	v_add_u32_e32 v50, 0x708, v63
	global_store_dwordx2 v[26:27], v[4:5], off
	v_lshlrev_b64 v[4:5], 3, v[64:65]
	v_mad_u64_u32 v[26:27], s[0:1], s2, v50, 0
	v_add_co_u32_e32 v4, vcc, v0, v4
	v_addc_co_u32_e32 v5, vcc, v1, v5, vcc
	global_store_dwordx2 v[4:5], v[22:23], off
	v_mov_b32_e32 v4, v27
	v_mad_u64_u32 v[4:5], s[0:1], s3, v50, v[4:5]
	v_add_u32_e32 v50, 0x5a, v63
	v_mad_u64_u32 v[22:23], s[0:1], s2, v50, 0
	v_mov_b32_e32 v27, v4
	v_lshlrev_b64 v[4:5], 3, v[26:27]
	v_mad_u64_u32 v[26:27], s[4:5], s3, v50, v[23:24]
	v_add_co_u32_e32 v4, vcc, v0, v4
	v_addc_co_u32_e32 v5, vcc, v1, v5, vcc
	v_mov_b32_e32 v23, v26
	global_store_dwordx2 v[4:5], v[2:3], off
	v_lshlrev_b64 v[2:3], 3, v[22:23]
	v_add_u32_e32 v22, 0x3de, v63
	v_mad_u64_u32 v[4:5], s[4:5], s2, v22, 0
	v_add_co_u32_e32 v2, vcc, v0, v2
	v_mad_u64_u32 v[22:23], s[4:5], s3, v22, v[5:6]
	v_add_u32_e32 v23, 0x762, v63
	v_mad_u64_u32 v[26:27], s[4:5], s2, v23, 0
	v_addc_co_u32_e32 v3, vcc, v1, v3, vcc
	v_mov_b32_e32 v5, v22
	global_store_dwordx2 v[2:3], v[69:70], off
	v_lshlrev_b64 v[2:3], 3, v[4:5]
	v_mov_b32_e32 v4, v27
	v_mad_u64_u32 v[4:5], s[4:5], s3, v23, v[4:5]
	v_add_u32_e32 v22, 0xb4, v63
	v_add_co_u32_e32 v2, vcc, v0, v2
	v_mov_b32_e32 v27, v4
	v_mad_u64_u32 v[4:5], s[4:5], s2, v22, 0
	v_addc_co_u32_e32 v3, vcc, v1, v3, vcc
	v_mad_u64_u32 v[22:23], s[4:5], s3, v22, v[5:6]
	v_add_u32_e32 v23, 0x438, v63
	global_store_dwordx2 v[2:3], v[48:49], off
	v_lshlrev_b64 v[2:3], 3, v[26:27]
	v_mad_u64_u32 v[26:27], s[4:5], s2, v23, 0
	v_add_co_u32_e32 v2, vcc, v0, v2
	v_addc_co_u32_e32 v3, vcc, v1, v3, vcc
	v_mov_b32_e32 v5, v22
	global_store_dwordx2 v[2:3], v[67:68], off
	v_lshlrev_b64 v[2:3], 3, v[4:5]
	v_mov_b32_e32 v4, v27
	v_mad_u64_u32 v[4:5], s[4:5], s3, v23, v[4:5]
	v_add_u32_e32 v22, 0x7bc, v63
	v_add_co_u32_e32 v2, vcc, v0, v2
	v_mov_b32_e32 v27, v4
	v_mad_u64_u32 v[4:5], s[4:5], s2, v22, 0
	v_addc_co_u32_e32 v3, vcc, v1, v3, vcc
	v_mad_u64_u32 v[22:23], s[4:5], s3, v22, v[5:6]
	v_add_u32_e32 v23, 0x10e, v63
	global_store_dwordx2 v[2:3], v[51:52], off
	v_lshlrev_b64 v[2:3], 3, v[26:27]
	v_mad_u64_u32 v[26:27], s[4:5], s2, v23, 0
	v_add_co_u32_e32 v2, vcc, v0, v2
	;; [unrolled: 17-line block ×4, first 2 shown]
	v_addc_co_u32_e32 v3, vcc, v1, v3, vcc
	v_mov_b32_e32 v5, v22
	global_store_dwordx2 v[2:3], v[56:57], off
	v_lshlrev_b64 v[2:3], 3, v[4:5]
	v_mov_b32_e32 v4, v27
	v_mad_u64_u32 v[4:5], s[4:5], s3, v23, v[4:5]
	v_add_u32_e32 v22, 0x870, v63
	v_add_co_u32_e32 v2, vcc, v0, v2
	v_mov_b32_e32 v27, v4
	v_mad_u64_u32 v[4:5], s[4:5], s2, v22, 0
	v_addc_co_u32_e32 v3, vcc, v1, v3, vcc
	v_mad_u64_u32 v[22:23], s[4:5], s3, v22, v[5:6]
	v_add_u32_e32 v23, 0x1c2, v63
	s_mov_b32 s1, 0x91a2b3c5
	global_store_dwordx2 v[2:3], v[60:61], off
	v_lshlrev_b64 v[2:3], 3, v[26:27]
	v_mul_hi_u32 v26, v23, s1
	v_add_co_u32_e32 v2, vcc, v0, v2
	v_addc_co_u32_e32 v3, vcc, v1, v3, vcc
	v_mov_b32_e32 v5, v22
	s_movk_i32 s0, 0x708
	global_store_dwordx2 v[2:3], v[40:41], off
	v_lshlrev_b64 v[2:3], 3, v[4:5]
	v_lshrrev_b32_e32 v4, 9, v26
	v_mad_u32_u24 v30, v4, s0, v23
	v_mad_u64_u32 v[4:5], s[4:5], s2, v30, 0
	v_add_co_u32_e32 v2, vcc, v0, v2
	v_mad_u64_u32 v[22:23], s[4:5], s3, v30, v[5:6]
	v_add_u32_e32 v23, 0x384, v30
	v_mad_u64_u32 v[26:27], s[4:5], s2, v23, 0
	v_addc_co_u32_e32 v3, vcc, v1, v3, vcc
	v_mov_b32_e32 v5, v22
	global_store_dwordx2 v[2:3], v[42:43], off
	v_lshlrev_b64 v[2:3], 3, v[4:5]
	v_mov_b32_e32 v4, v27
	v_mad_u64_u32 v[4:5], s[4:5], s3, v23, v[4:5]
	v_add_u32_e32 v22, 0x708, v30
	v_add_co_u32_e32 v2, vcc, v0, v2
	v_mov_b32_e32 v27, v4
	v_mad_u64_u32 v[4:5], s[4:5], s2, v22, 0
	v_addc_co_u32_e32 v3, vcc, v1, v3, vcc
	v_mad_u64_u32 v[22:23], s[4:5], s3, v22, v[5:6]
	v_add_u32_e32 v23, 0x21c, v63
	global_store_dwordx2 v[2:3], v[46:47], off
	v_lshlrev_b64 v[2:3], 3, v[26:27]
	v_mad_u64_u32 v[26:27], s[4:5], s2, v23, 0
	v_add_co_u32_e32 v2, vcc, v0, v2
	v_addc_co_u32_e32 v3, vcc, v1, v3, vcc
	v_mov_b32_e32 v5, v22
	global_store_dwordx2 v[2:3], v[6:7], off
	v_lshlrev_b64 v[2:3], 3, v[4:5]
	v_mov_b32_e32 v4, v27
	v_mad_u64_u32 v[4:5], s[4:5], s3, v23, v[4:5]
	v_add_u32_e32 v6, 0x5a0, v63
	v_add_co_u32_e32 v2, vcc, v0, v2
	v_mov_b32_e32 v27, v4
	v_mad_u64_u32 v[4:5], s[4:5], s2, v6, 0
	v_addc_co_u32_e32 v3, vcc, v1, v3, vcc
	global_store_dwordx2 v[2:3], v[8:9], off
	v_mad_u64_u32 v[5:6], s[4:5], s3, v6, v[5:6]
	v_add_u32_e32 v8, 0x924, v63
	v_lshlrev_b64 v[2:3], 3, v[26:27]
	v_mad_u64_u32 v[6:7], s[4:5], s2, v8, 0
	v_add_co_u32_e32 v2, vcc, v0, v2
	v_addc_co_u32_e32 v3, vcc, v1, v3, vcc
	global_store_dwordx2 v[2:3], v[44:45], off
	v_lshlrev_b64 v[2:3], 3, v[4:5]
	v_mov_b32_e32 v4, v7
	v_mad_u64_u32 v[4:5], s[4:5], s3, v8, v[4:5]
	v_add_co_u32_e32 v2, vcc, v0, v2
	v_addc_co_u32_e32 v3, vcc, v1, v3, vcc
	v_mov_b32_e32 v7, v4
	global_store_dwordx2 v[2:3], v[38:39], off
	v_lshlrev_b64 v[2:3], 3, v[6:7]
	v_add_u32_e32 v6, 0x276, v63
	v_mad_u64_u32 v[4:5], s[4:5], s2, v6, 0
	v_add_u32_e32 v8, 0x5fa, v63
	v_add_co_u32_e32 v2, vcc, v0, v2
	v_mad_u64_u32 v[5:6], s[4:5], s3, v6, v[5:6]
	v_mad_u64_u32 v[6:7], s[4:5], s2, v8, 0
	v_addc_co_u32_e32 v3, vcc, v1, v3, vcc
	global_store_dwordx2 v[2:3], v[36:37], off
	v_lshlrev_b64 v[2:3], 3, v[4:5]
	v_mov_b32_e32 v4, v7
	v_mad_u64_u32 v[4:5], s[4:5], s3, v8, v[4:5]
	v_add_co_u32_e32 v2, vcc, v0, v2
	v_addc_co_u32_e32 v3, vcc, v1, v3, vcc
	v_mov_b32_e32 v7, v4
	global_store_dwordx2 v[2:3], v[34:35], off
	v_lshlrev_b64 v[2:3], 3, v[6:7]
	v_add_u32_e32 v6, 0x97e, v63
	v_mad_u64_u32 v[4:5], s[4:5], s2, v6, 0
	v_add_co_u32_e32 v2, vcc, v0, v2
	v_mad_u64_u32 v[5:6], s[4:5], s3, v6, v[5:6]
	v_add_u32_e32 v6, 0x2d0, v63
	v_mul_hi_u32 v7, v6, s1
	v_addc_co_u32_e32 v3, vcc, v1, v3, vcc
	global_store_dwordx2 v[2:3], v[28:29], off
	v_lshlrev_b64 v[2:3], 3, v[4:5]
	v_lshrrev_b32_e32 v4, 9, v7
	v_mad_u32_u24 v8, v4, s0, v6
	v_mad_u64_u32 v[4:5], s[4:5], s2, v8, 0
	v_add_u32_e32 v9, 0x384, v8
	v_add_co_u32_e32 v2, vcc, v0, v2
	v_mad_u64_u32 v[5:6], s[4:5], s3, v8, v[5:6]
	v_mad_u64_u32 v[6:7], s[4:5], s2, v9, 0
	v_addc_co_u32_e32 v3, vcc, v1, v3, vcc
	global_store_dwordx2 v[2:3], v[24:25], off
	v_lshlrev_b64 v[2:3], 3, v[4:5]
	v_mov_b32_e32 v4, v7
	v_mad_u64_u32 v[4:5], s[4:5], s3, v9, v[4:5]
	v_add_co_u32_e32 v2, vcc, v0, v2
	v_addc_co_u32_e32 v3, vcc, v1, v3, vcc
	v_mov_b32_e32 v7, v4
	global_store_dwordx2 v[2:3], v[20:21], off
	v_lshlrev_b64 v[2:3], 3, v[6:7]
	v_add_u32_e32 v6, 0x708, v8
	v_mad_u64_u32 v[4:5], s[4:5], s2, v6, 0
	v_add_u32_e32 v7, 0x32a, v63
	v_mul_hi_u32 v8, v7, s1
	v_mad_u64_u32 v[5:6], s[4:5], s3, v6, v[5:6]
	v_add_co_u32_e32 v2, vcc, v0, v2
	v_lshrrev_b32_e32 v6, 9, v8
	v_mad_u32_u24 v8, v6, s0, v7
	v_mad_u64_u32 v[6:7], s[0:1], s2, v8, 0
	v_addc_co_u32_e32 v3, vcc, v1, v3, vcc
	global_store_dwordx2 v[2:3], v[18:19], off
	v_lshlrev_b64 v[2:3], 3, v[4:5]
	v_mov_b32_e32 v4, v7
	v_mad_u64_u32 v[4:5], s[0:1], s3, v8, v[4:5]
	v_add_co_u32_e32 v2, vcc, v0, v2
	v_addc_co_u32_e32 v3, vcc, v1, v3, vcc
	v_mov_b32_e32 v7, v4
	global_store_dwordx2 v[2:3], v[16:17], off
	v_lshlrev_b64 v[2:3], 3, v[6:7]
	v_add_u32_e32 v6, 0x384, v8
	v_mad_u64_u32 v[4:5], s[0:1], s2, v6, 0
	v_add_u32_e32 v8, 0x708, v8
	v_add_co_u32_e32 v2, vcc, v0, v2
	v_mad_u64_u32 v[5:6], s[0:1], s3, v6, v[5:6]
	v_mad_u64_u32 v[6:7], s[0:1], s2, v8, 0
	v_addc_co_u32_e32 v3, vcc, v1, v3, vcc
	global_store_dwordx2 v[2:3], v[14:15], off
	v_lshlrev_b64 v[2:3], 3, v[4:5]
	v_mov_b32_e32 v4, v7
	v_mad_u64_u32 v[4:5], s[0:1], s3, v8, v[4:5]
	v_add_co_u32_e32 v2, vcc, v0, v2
	v_addc_co_u32_e32 v3, vcc, v1, v3, vcc
	v_mov_b32_e32 v7, v4
	global_store_dwordx2 v[2:3], v[12:13], off
	v_lshlrev_b64 v[2:3], 3, v[6:7]
	v_add_co_u32_e32 v0, vcc, v0, v2
	v_addc_co_u32_e32 v1, vcc, v1, v3, vcc
	global_store_dwordx2 v[0:1], v[10:11], off
.LBB0_15:
	s_endpgm
	.section	.rodata,"a",@progbits
	.p2align	6, 0x0
	.amdhsa_kernel fft_rtc_back_len2700_factors_3_10_10_3_3_wgs_90_tpt_90_halfLds_sp_ip_CI_sbrr_dirReg
		.amdhsa_group_segment_fixed_size 0
		.amdhsa_private_segment_fixed_size 0
		.amdhsa_kernarg_size 88
		.amdhsa_user_sgpr_count 6
		.amdhsa_user_sgpr_private_segment_buffer 1
		.amdhsa_user_sgpr_dispatch_ptr 0
		.amdhsa_user_sgpr_queue_ptr 0
		.amdhsa_user_sgpr_kernarg_segment_ptr 1
		.amdhsa_user_sgpr_dispatch_id 0
		.amdhsa_user_sgpr_flat_scratch_init 0
		.amdhsa_user_sgpr_private_segment_size 0
		.amdhsa_uses_dynamic_stack 0
		.amdhsa_system_sgpr_private_segment_wavefront_offset 0
		.amdhsa_system_sgpr_workgroup_id_x 1
		.amdhsa_system_sgpr_workgroup_id_y 0
		.amdhsa_system_sgpr_workgroup_id_z 0
		.amdhsa_system_sgpr_workgroup_info 0
		.amdhsa_system_vgpr_workitem_id 0
		.amdhsa_next_free_vgpr 136
		.amdhsa_next_free_sgpr 24
		.amdhsa_reserve_vcc 1
		.amdhsa_reserve_flat_scratch 0
		.amdhsa_float_round_mode_32 0
		.amdhsa_float_round_mode_16_64 0
		.amdhsa_float_denorm_mode_32 3
		.amdhsa_float_denorm_mode_16_64 3
		.amdhsa_dx10_clamp 1
		.amdhsa_ieee_mode 1
		.amdhsa_fp16_overflow 0
		.amdhsa_exception_fp_ieee_invalid_op 0
		.amdhsa_exception_fp_denorm_src 0
		.amdhsa_exception_fp_ieee_div_zero 0
		.amdhsa_exception_fp_ieee_overflow 0
		.amdhsa_exception_fp_ieee_underflow 0
		.amdhsa_exception_fp_ieee_inexact 0
		.amdhsa_exception_int_div_zero 0
	.end_amdhsa_kernel
	.text
.Lfunc_end0:
	.size	fft_rtc_back_len2700_factors_3_10_10_3_3_wgs_90_tpt_90_halfLds_sp_ip_CI_sbrr_dirReg, .Lfunc_end0-fft_rtc_back_len2700_factors_3_10_10_3_3_wgs_90_tpt_90_halfLds_sp_ip_CI_sbrr_dirReg
                                        ; -- End function
	.section	.AMDGPU.csdata,"",@progbits
; Kernel info:
; codeLenInByte = 19120
; NumSgprs: 28
; NumVgprs: 136
; ScratchSize: 0
; MemoryBound: 0
; FloatMode: 240
; IeeeMode: 1
; LDSByteSize: 0 bytes/workgroup (compile time only)
; SGPRBlocks: 3
; VGPRBlocks: 33
; NumSGPRsForWavesPerEU: 28
; NumVGPRsForWavesPerEU: 136
; Occupancy: 1
; WaveLimiterHint : 1
; COMPUTE_PGM_RSRC2:SCRATCH_EN: 0
; COMPUTE_PGM_RSRC2:USER_SGPR: 6
; COMPUTE_PGM_RSRC2:TRAP_HANDLER: 0
; COMPUTE_PGM_RSRC2:TGID_X_EN: 1
; COMPUTE_PGM_RSRC2:TGID_Y_EN: 0
; COMPUTE_PGM_RSRC2:TGID_Z_EN: 0
; COMPUTE_PGM_RSRC2:TIDIG_COMP_CNT: 0
	.type	__hip_cuid_1a2125e87d950cb,@object ; @__hip_cuid_1a2125e87d950cb
	.section	.bss,"aw",@nobits
	.globl	__hip_cuid_1a2125e87d950cb
__hip_cuid_1a2125e87d950cb:
	.byte	0                               ; 0x0
	.size	__hip_cuid_1a2125e87d950cb, 1

	.ident	"AMD clang version 19.0.0git (https://github.com/RadeonOpenCompute/llvm-project roc-6.4.0 25133 c7fe45cf4b819c5991fe208aaa96edf142730f1d)"
	.section	".note.GNU-stack","",@progbits
	.addrsig
	.addrsig_sym __hip_cuid_1a2125e87d950cb
	.amdgpu_metadata
---
amdhsa.kernels:
  - .args:
      - .actual_access:  read_only
        .address_space:  global
        .offset:         0
        .size:           8
        .value_kind:     global_buffer
      - .offset:         8
        .size:           8
        .value_kind:     by_value
      - .actual_access:  read_only
        .address_space:  global
        .offset:         16
        .size:           8
        .value_kind:     global_buffer
      - .actual_access:  read_only
        .address_space:  global
        .offset:         24
        .size:           8
        .value_kind:     global_buffer
      - .offset:         32
        .size:           8
        .value_kind:     by_value
      - .actual_access:  read_only
        .address_space:  global
        .offset:         40
        .size:           8
        .value_kind:     global_buffer
      - .actual_access:  read_only
        .address_space:  global
        .offset:         48
        .size:           8
        .value_kind:     global_buffer
      - .offset:         56
        .size:           4
        .value_kind:     by_value
      - .actual_access:  read_only
        .address_space:  global
        .offset:         64
        .size:           8
        .value_kind:     global_buffer
      - .actual_access:  read_only
        .address_space:  global
        .offset:         72
        .size:           8
        .value_kind:     global_buffer
      - .address_space:  global
        .offset:         80
        .size:           8
        .value_kind:     global_buffer
    .group_segment_fixed_size: 0
    .kernarg_segment_align: 8
    .kernarg_segment_size: 88
    .language:       OpenCL C
    .language_version:
      - 2
      - 0
    .max_flat_workgroup_size: 90
    .name:           fft_rtc_back_len2700_factors_3_10_10_3_3_wgs_90_tpt_90_halfLds_sp_ip_CI_sbrr_dirReg
    .private_segment_fixed_size: 0
    .sgpr_count:     28
    .sgpr_spill_count: 0
    .symbol:         fft_rtc_back_len2700_factors_3_10_10_3_3_wgs_90_tpt_90_halfLds_sp_ip_CI_sbrr_dirReg.kd
    .uniform_work_group_size: 1
    .uses_dynamic_stack: false
    .vgpr_count:     136
    .vgpr_spill_count: 0
    .wavefront_size: 64
amdhsa.target:   amdgcn-amd-amdhsa--gfx906
amdhsa.version:
  - 1
  - 2
...

	.end_amdgpu_metadata
